;; amdgpu-corpus repo=ggml-org/llama.cpp kind=compiled arch=gfx906 opt=O3
	.amdgcn_target "amdgcn-amd-amdhsa--gfx906"
	.amdhsa_code_object_version 6
	.section	.text._ZL13im2col_kernelI6__halfEvPKfPT_lllllllllllliiiiii,"axG",@progbits,_ZL13im2col_kernelI6__halfEvPKfPT_lllllllllllliiiiii,comdat
	.globl	_ZL13im2col_kernelI6__halfEvPKfPT_lllllllllllliiiiii ; -- Begin function _ZL13im2col_kernelI6__halfEvPKfPT_lllllllllllliiiiii
	.p2align	8
	.type	_ZL13im2col_kernelI6__halfEvPKfPT_lllllllllllliiiiii,@function
_ZL13im2col_kernelI6__halfEvPKfPT_lllllllllllliiiiii: ; @_ZL13im2col_kernelI6__halfEvPKfPT_lllllllllllliiiiii
; %bb.0:
	s_load_dword s0, s[4:5], 0x94
	s_load_dwordx2 s[34:35], s[4:5], 0x68
	v_mov_b32_e32 v1, 0
	s_waitcnt lgkmcnt(0)
	s_and_b32 s0, s0, 0xffff
	s_mul_i32 s6, s6, s0
	v_add_u32_e32 v0, s6, v0
	v_cmp_gt_i64_e32 vcc, s[34:35], v[0:1]
	s_and_saveexec_b64 s[0:1], vcc
	s_cbranch_execz .LBB0_20
; %bb.1:
	s_load_dwordx8 s[12:19], s[4:5], 0x18
	s_mov_b32 s10, s7
	s_mov_b32 s11, 0
	v_mov_b32_e32 v2, s10
	v_mov_b32_e32 v3, s11
	s_waitcnt lgkmcnt(0)
	v_cmp_le_i64_e32 vcc, s[18:19], v[2:3]
	s_cbranch_vccnz .LBB0_20
; %bb.2:
	s_load_dwordx8 s[20:27], s[4:5], 0x48
	s_load_dwordx2 s[2:3], s[4:5], 0x38
	s_mov_b32 s0, s11
	s_waitcnt lgkmcnt(0)
	s_mov_b32 s1, s27
	s_cmp_lg_u64 s[0:1], 0
	s_cbranch_scc0 .LBB0_21
; %bb.3:
	s_ashr_i32 s6, s27, 31
	s_add_u32 s0, s26, s6
	s_mov_b32 s7, s6
	s_addc_u32 s1, s27, s6
	s_xor_b64 s[28:29], s[0:1], s[6:7]
	v_cvt_f32_u32_e32 v2, s28
	v_cvt_f32_u32_e32 v3, s29
	s_sub_u32 s7, 0, s28
	s_subb_u32 s9, 0, s29
	v_add_co_u32_e32 v6, vcc, 0, v0
	v_madmk_f32 v2, v3, 0x4f800000, v2
	v_rcp_f32_e32 v2, v2
	v_mul_f32_e32 v2, 0x5f7ffffc, v2
	v_mul_f32_e32 v3, 0x2f800000, v2
	v_trunc_f32_e32 v3, v3
	v_madmk_f32 v2, v3, 0xcf800000, v2
	v_cvt_u32_f32_e32 v3, v3
	v_cvt_u32_f32_e32 v2, v2
	v_readfirstlane_b32 s30, v3
	v_readfirstlane_b32 s0, v2
	s_mul_i32 s1, s7, s30
	s_mul_hi_u32 s33, s7, s0
	s_mul_i32 s31, s9, s0
	s_add_i32 s1, s33, s1
	s_add_i32 s1, s1, s31
	s_mul_i32 s36, s7, s0
	s_mul_i32 s33, s0, s1
	s_mul_hi_u32 s37, s0, s36
	s_mul_hi_u32 s31, s0, s1
	s_add_u32 s33, s37, s33
	s_addc_u32 s31, 0, s31
	s_mul_hi_u32 s38, s30, s36
	s_mul_i32 s36, s30, s36
	s_add_u32 s33, s33, s36
	s_mul_hi_u32 s37, s30, s1
	s_addc_u32 s31, s31, s38
	s_addc_u32 s33, s37, 0
	s_mul_i32 s1, s30, s1
	s_add_u32 s1, s31, s1
	s_addc_u32 s31, 0, s33
	s_add_u32 s33, s0, s1
	s_cselect_b64 s[0:1], -1, 0
	s_cmp_lg_u64 s[0:1], 0
	s_addc_u32 s30, s30, s31
	s_mul_i32 s0, s7, s30
	s_mul_hi_u32 s1, s7, s33
	s_add_i32 s0, s1, s0
	s_mul_i32 s9, s9, s33
	s_add_i32 s0, s0, s9
	s_mul_i32 s7, s7, s33
	s_mul_hi_u32 s9, s30, s7
	s_mul_i32 s31, s30, s7
	s_mul_i32 s37, s33, s0
	s_mul_hi_u32 s7, s33, s7
	s_mul_hi_u32 s36, s33, s0
	s_add_u32 s7, s7, s37
	s_addc_u32 s36, 0, s36
	s_add_u32 s7, s7, s31
	s_mul_hi_u32 s1, s30, s0
	s_addc_u32 s7, s36, s9
	s_addc_u32 s1, s1, 0
	s_mul_i32 s0, s30, s0
	s_add_u32 s0, s7, s0
	s_addc_u32 s7, 0, s1
	s_add_u32 s9, s33, s0
	s_cselect_b64 s[0:1], -1, 0
	s_cmp_lg_u64 s[0:1], 0
	s_addc_u32 s7, s30, s7
	v_mad_u64_u32 v[2:3], s[0:1], v6, s7, 0
	v_mul_hi_u32 v4, v6, s9
	v_addc_co_u32_e64 v7, s[0:1], 0, 0, vcc
	v_add_co_u32_e32 v8, vcc, v4, v2
	v_addc_co_u32_e32 v9, vcc, 0, v3, vcc
	v_mad_u64_u32 v[2:3], s[0:1], v7, s9, 0
	v_mad_u64_u32 v[4:5], s[0:1], v7, s7, 0
	v_add_co_u32_e32 v2, vcc, v8, v2
	v_addc_co_u32_e32 v2, vcc, v9, v3, vcc
	v_addc_co_u32_e32 v3, vcc, 0, v5, vcc
	v_add_co_u32_e32 v4, vcc, v2, v4
	v_addc_co_u32_e32 v5, vcc, 0, v3, vcc
	v_mul_lo_u32 v8, s29, v4
	v_mul_lo_u32 v9, s28, v5
	v_mad_u64_u32 v[2:3], s[0:1], s28, v4, 0
	v_add3_u32 v3, v3, v9, v8
	v_sub_u32_e32 v8, v7, v3
	v_mov_b32_e32 v9, s29
	v_sub_co_u32_e32 v2, vcc, v6, v2
	v_subb_co_u32_e64 v6, s[0:1], v8, v9, vcc
	v_subrev_co_u32_e64 v8, s[0:1], s28, v2
	v_subbrev_co_u32_e64 v6, s[0:1], 0, v6, s[0:1]
	v_cmp_le_u32_e64 s[0:1], s29, v6
	v_cndmask_b32_e64 v9, 0, -1, s[0:1]
	v_cmp_le_u32_e64 s[0:1], s28, v8
	v_cndmask_b32_e64 v8, 0, -1, s[0:1]
	v_cmp_eq_u32_e64 s[0:1], s29, v6
	v_cndmask_b32_e64 v6, v9, v8, s[0:1]
	v_add_co_u32_e64 v8, s[0:1], 2, v4
	v_subb_co_u32_e32 v3, vcc, v7, v3, vcc
	v_addc_co_u32_e64 v9, s[0:1], 0, v5, s[0:1]
	v_cmp_le_u32_e32 vcc, s29, v3
	v_add_co_u32_e64 v10, s[0:1], 1, v4
	v_cndmask_b32_e64 v7, 0, -1, vcc
	v_cmp_le_u32_e32 vcc, s28, v2
	v_addc_co_u32_e64 v11, s[0:1], 0, v5, s[0:1]
	v_cndmask_b32_e64 v2, 0, -1, vcc
	v_cmp_eq_u32_e32 vcc, s29, v3
	v_cmp_ne_u32_e64 s[0:1], 0, v6
	v_cndmask_b32_e32 v2, v7, v2, vcc
	v_cmp_ne_u32_e32 vcc, 0, v2
	v_cndmask_b32_e64 v3, v10, v8, s[0:1]
	v_cndmask_b32_e64 v6, v11, v9, s[0:1]
	v_cndmask_b32_e32 v3, v4, v3, vcc
	v_cndmask_b32_e32 v2, v5, v6, vcc
	v_xor_b32_e32 v3, s6, v3
	v_xor_b32_e32 v2, s6, v2
	v_mov_b32_e32 v5, s6
	v_subrev_co_u32_e32 v4, vcc, s6, v3
	v_subb_co_u32_e32 v5, vcc, v2, v5, vcc
	s_cbranch_execnz .LBB0_5
.LBB0_4:
	v_cvt_f32_u32_e32 v2, s26
	s_sub_i32 s0, 0, s26
	v_rcp_iflag_f32_e32 v2, v2
	v_mul_f32_e32 v2, 0x4f7ffffe, v2
	v_cvt_u32_f32_e32 v2, v2
	v_mul_lo_u32 v3, s0, v2
	v_mul_hi_u32 v3, v2, v3
	v_add_u32_e32 v2, v2, v3
	v_mul_hi_u32 v2, v0, v2
	v_mul_lo_u32 v3, v2, s26
	v_add_u32_e32 v4, 1, v2
	v_sub_u32_e32 v3, v0, v3
	v_subrev_u32_e32 v5, s26, v3
	v_cmp_le_u32_e32 vcc, s26, v3
	v_cndmask_b32_e32 v3, v3, v5, vcc
	v_cndmask_b32_e32 v2, v2, v4, vcc
	v_add_u32_e32 v4, 1, v2
	v_cmp_le_u32_e32 vcc, s26, v3
	v_cndmask_b32_e32 v4, v2, v4, vcc
	v_mov_b32_e32 v5, 0
.LBB0_5:
	v_mul_lo_u32 v6, v5, s26
	v_mul_lo_u32 v7, v4, s27
	v_mad_u64_u32 v[2:3], s[0:1], v4, s26, 0
	v_add3_u32 v3, v3, v7, v6
	v_sub_co_u32_e32 v6, vcc, v0, v2
	v_subb_co_u32_e32 v7, vcc, 0, v3, vcc
	v_or_b32_e32 v3, s3, v7
	v_mov_b32_e32 v2, 0
	v_cmp_ne_u64_e32 vcc, 0, v[2:3]
                                        ; implicit-def: $vgpr2_vgpr3
	s_and_saveexec_b64 s[0:1], vcc
	s_xor_b64 s[6:7], exec, s[0:1]
	s_cbranch_execz .LBB0_7
; %bb.6:
	s_ashr_i32 s26, s3, 31
	s_add_u32 s0, s2, s26
	s_mov_b32 s27, s26
	s_addc_u32 s1, s3, s26
	s_xor_b64 s[28:29], s[0:1], s[26:27]
	v_cvt_f32_u32_e32 v2, s28
	v_cvt_f32_u32_e32 v3, s29
	s_sub_u32 s9, 0, s28
	s_subb_u32 s27, 0, s29
	v_ashrrev_i32_e32 v10, 31, v7
	v_madmk_f32 v2, v3, 0x4f800000, v2
	v_rcp_f32_e32 v2, v2
	v_mul_f32_e32 v2, 0x5f7ffffc, v2
	v_mul_f32_e32 v3, 0x2f800000, v2
	v_trunc_f32_e32 v3, v3
	v_madmk_f32 v2, v3, 0xcf800000, v2
	v_cvt_u32_f32_e32 v3, v3
	v_cvt_u32_f32_e32 v2, v2
	v_readfirstlane_b32 s30, v3
	v_readfirstlane_b32 s0, v2
	s_mul_i32 s1, s9, s30
	s_mul_hi_u32 s33, s9, s0
	s_mul_i32 s31, s27, s0
	s_add_i32 s1, s33, s1
	s_add_i32 s1, s1, s31
	s_mul_i32 s36, s9, s0
	s_mul_i32 s33, s0, s1
	s_mul_hi_u32 s37, s0, s36
	s_mul_hi_u32 s31, s0, s1
	s_add_u32 s33, s37, s33
	s_addc_u32 s31, 0, s31
	s_mul_hi_u32 s38, s30, s36
	s_mul_i32 s36, s30, s36
	s_add_u32 s33, s33, s36
	s_mul_hi_u32 s37, s30, s1
	s_addc_u32 s31, s31, s38
	s_addc_u32 s33, s37, 0
	s_mul_i32 s1, s30, s1
	s_add_u32 s1, s31, s1
	s_addc_u32 s31, 0, s33
	s_add_u32 s33, s0, s1
	s_cselect_b64 s[0:1], -1, 0
	s_cmp_lg_u64 s[0:1], 0
	s_addc_u32 s30, s30, s31
	s_mul_i32 s0, s9, s30
	s_mul_hi_u32 s1, s9, s33
	s_add_i32 s0, s1, s0
	s_mul_i32 s27, s27, s33
	s_add_i32 s0, s0, s27
	s_mul_i32 s9, s9, s33
	s_mul_hi_u32 s27, s30, s9
	s_mul_i32 s31, s30, s9
	s_mul_i32 s37, s33, s0
	s_mul_hi_u32 s9, s33, s9
	s_mul_hi_u32 s36, s33, s0
	s_add_u32 s9, s9, s37
	s_addc_u32 s36, 0, s36
	s_add_u32 s9, s9, s31
	s_mul_hi_u32 s1, s30, s0
	s_addc_u32 s9, s36, s27
	s_addc_u32 s1, s1, 0
	s_mul_i32 s0, s30, s0
	s_add_u32 s0, s9, s0
	s_addc_u32 s9, 0, s1
	s_add_u32 s27, s33, s0
	s_cselect_b64 s[0:1], -1, 0
	s_cmp_lg_u64 s[0:1], 0
	v_add_co_u32_e32 v2, vcc, v6, v10
	s_addc_u32 s9, s30, s9
	v_xor_b32_e32 v11, v2, v10
	v_mad_u64_u32 v[2:3], s[0:1], v11, s9, 0
	v_mul_hi_u32 v9, v11, s27
	v_addc_co_u32_e32 v8, vcc, v7, v10, vcc
	v_xor_b32_e32 v12, v8, v10
	v_add_co_u32_e32 v13, vcc, v9, v2
	v_addc_co_u32_e32 v14, vcc, 0, v3, vcc
	v_mad_u64_u32 v[2:3], s[0:1], v12, s27, 0
	v_mad_u64_u32 v[8:9], s[0:1], v12, s9, 0
	v_add_co_u32_e32 v2, vcc, v13, v2
	v_addc_co_u32_e32 v2, vcc, v14, v3, vcc
	v_addc_co_u32_e32 v3, vcc, 0, v9, vcc
	v_add_co_u32_e32 v8, vcc, v2, v8
	v_addc_co_u32_e32 v9, vcc, 0, v3, vcc
	v_mul_lo_u32 v13, s29, v8
	v_mul_lo_u32 v14, s28, v9
	v_mad_u64_u32 v[2:3], s[0:1], s28, v8, 0
	v_add3_u32 v3, v3, v14, v13
	v_sub_u32_e32 v13, v12, v3
	v_mov_b32_e32 v14, s29
	v_sub_co_u32_e32 v2, vcc, v11, v2
	v_subb_co_u32_e64 v11, s[0:1], v13, v14, vcc
	v_subrev_co_u32_e64 v13, s[0:1], s28, v2
	v_subbrev_co_u32_e64 v11, s[0:1], 0, v11, s[0:1]
	v_cmp_le_u32_e64 s[0:1], s29, v11
	v_cndmask_b32_e64 v14, 0, -1, s[0:1]
	v_cmp_le_u32_e64 s[0:1], s28, v13
	v_cndmask_b32_e64 v13, 0, -1, s[0:1]
	v_cmp_eq_u32_e64 s[0:1], s29, v11
	v_cndmask_b32_e64 v11, v14, v13, s[0:1]
	v_add_co_u32_e64 v13, s[0:1], 2, v8
	v_subb_co_u32_e32 v3, vcc, v12, v3, vcc
	v_addc_co_u32_e64 v14, s[0:1], 0, v9, s[0:1]
	v_cmp_le_u32_e32 vcc, s29, v3
	v_add_co_u32_e64 v15, s[0:1], 1, v8
	v_cndmask_b32_e64 v12, 0, -1, vcc
	v_cmp_le_u32_e32 vcc, s28, v2
	v_addc_co_u32_e64 v16, s[0:1], 0, v9, s[0:1]
	v_cndmask_b32_e64 v2, 0, -1, vcc
	v_cmp_eq_u32_e32 vcc, s29, v3
	v_cmp_ne_u32_e64 s[0:1], 0, v11
	v_cndmask_b32_e32 v2, v12, v2, vcc
	v_cndmask_b32_e64 v11, v16, v14, s[0:1]
	v_cmp_ne_u32_e32 vcc, 0, v2
	v_cndmask_b32_e64 v3, v15, v13, s[0:1]
	v_cndmask_b32_e32 v2, v9, v11, vcc
	v_cndmask_b32_e32 v3, v8, v3, vcc
	v_xor_b32_e32 v8, s26, v10
	v_xor_b32_e32 v9, v2, v8
	;; [unrolled: 1-line block ×3, first 2 shown]
	v_sub_co_u32_e32 v2, vcc, v2, v8
	v_subb_co_u32_e32 v3, vcc, v9, v8, vcc
.LBB0_7:
	s_andn2_saveexec_b64 s[0:1], s[6:7]
	s_cbranch_execz .LBB0_9
; %bb.8:
	v_cvt_f32_u32_e32 v2, s2
	s_sub_i32 s6, 0, s2
	v_rcp_iflag_f32_e32 v2, v2
	v_mul_f32_e32 v2, 0x4f7ffffe, v2
	v_cvt_u32_f32_e32 v2, v2
	v_mul_lo_u32 v3, s6, v2
	v_mul_hi_u32 v3, v2, v3
	v_add_u32_e32 v2, v2, v3
	v_mul_hi_u32 v2, v6, v2
	v_mul_lo_u32 v3, v2, s2
	v_add_u32_e32 v8, 1, v2
	v_sub_u32_e32 v3, v6, v3
	v_subrev_u32_e32 v9, s2, v3
	v_cmp_le_u32_e32 vcc, s2, v3
	v_cndmask_b32_e32 v3, v3, v9, vcc
	v_cndmask_b32_e32 v2, v2, v8, vcc
	v_add_u32_e32 v8, 1, v2
	v_cmp_le_u32_e32 vcc, s2, v3
	v_cndmask_b32_e32 v2, v2, v8, vcc
	v_mov_b32_e32 v3, 0
.LBB0_9:
	s_or_b64 exec, exec, s[0:1]
	v_mad_u64_u32 v[8:9], s[0:1], v2, s2, 0
	v_mul_lo_u32 v10, v3, s2
	v_mul_lo_u32 v11, v2, s3
	s_load_dwordx4 s[0:3], s[4:5], 0x0
	s_load_dwordx4 s[28:31], s[4:5], 0x70
	s_load_dwordx2 s[6:7], s[4:5], 0x80
	v_sub_co_u32_e32 v6, vcc, v6, v8
	v_add3_u32 v9, v9, v11, v10
	v_subb_co_u32_e32 v7, vcc, v7, v9, vcc
	s_waitcnt lgkmcnt(0)
	s_ashr_i32 s5, s6, 31
	v_mul_lo_u32 v10, v7, s6
	v_mul_lo_u32 v11, v6, s5
	v_mad_u64_u32 v[6:7], s[26:27], v6, s6, 0
	s_ashr_i32 s5, s30, 31
	v_mov_b32_e32 v12, s5
	s_ashr_i32 s5, s7, 31
	v_add3_u32 v7, v7, v11, v10
	v_mul_lo_u32 v13, v3, s7
	v_mul_lo_u32 v14, v2, s5
	v_mad_u64_u32 v[10:11], s[6:7], v2, s7, 0
	v_subrev_co_u32_e32 v2, vcc, s30, v6
	v_subb_co_u32_e32 v3, vcc, v7, v12, vcc
	v_add3_u32 v11, v11, v14, v13
	v_mul_lo_u32 v13, v5, s20
	v_mul_lo_u32 v14, v4, s21
	v_mad_u64_u32 v[6:7], s[6:7], v4, s20, 0
	s_ashr_i32 s5, s31, 31
	v_mov_b32_e32 v12, s5
	v_add3_u32 v7, v7, v14, v13
	v_subrev_co_u32_e32 v4, vcc, s31, v10
	v_lshlrev_b64 v[6:7], 2, v[6:7]
	v_subb_co_u32_e32 v5, vcc, v11, v12, vcc
	v_mov_b32_e32 v10, s1
	v_add_co_u32_e32 v12, vcc, s0, v6
	s_mul_i32 s0, s19, s8
	s_mul_hi_u32 s1, s18, s8
	s_ashr_i32 s33, s28, 31
	s_ashr_i32 s30, s29, 31
	s_add_i32 s1, s1, s0
	s_mul_i32 s0, s18, s8
	s_add_u32 s0, s0, s10
	s_addc_u32 s1, s1, 0
	s_mul_i32 s1, s34, s1
	s_mul_hi_u32 s5, s34, s0
	s_add_i32 s1, s5, s1
	s_mul_i32 s5, s35, s0
	s_add_i32 s1, s1, s5
	s_mul_i32 s0, s34, s0
	s_lshl_b64 s[0:1], s[0:1], 1
	v_lshlrev_b64 v[0:1], 1, v[0:1]
	s_add_u32 s0, s2, s0
	s_mov_b32 s4, 0
	v_addc_co_u32_e32 v13, vcc, v10, v7, vcc
	s_addc_u32 s1, s3, s1
	s_mov_b32 s9, s4
	v_mov_b32_e32 v8, s8
	v_mov_b32_e32 v6, s1
	v_add_co_u32_e32 v0, vcc, s0, v0
	s_mul_i32 s0, s35, 0x1fffe
	s_mul_hi_u32 s1, s34, 0x1fffe
	s_mul_i32 s34, s34, 0x1fffe
	v_mov_b32_e32 v9, s9
	v_addc_co_u32_e32 v1, vcc, v6, v1, vcc
	s_add_i32 s31, s1, s0
	s_mul_i32 s1, s34, s19
	s_mul_hi_u32 s2, s34, s18
	s_mul_i32 s0, s31, s18
	s_add_i32 s1, s2, s1
	v_cmp_gt_i64_e32 vcc, s[24:25], v[8:9]
	s_add_i32 s35, s1, s0
	s_sub_u32 s37, 0, s16
	v_cndmask_b32_e64 v6, 0, 1, vcc
	s_mul_i32 s36, s34, s18
	s_subb_u32 s38, 0, s17
	v_cmp_ne_u32_e64 s[0:1], 1, v6
	s_branch .LBB0_11
.LBB0_10:                               ;   in Loop: Header=BB0_11 Depth=1
	s_add_u32 s10, s10, 0xffff
	v_mov_b32_e32 v6, s18
	s_addc_u32 s11, s11, 0
	v_mov_b32_e32 v7, s19
	v_cmp_ge_i64_e32 vcc, s[10:11], v[6:7]
	v_mov_b32_e32 v8, s31
	v_add_co_u32_e64 v0, s[2:3], s34, v0
	v_addc_co_u32_e64 v1, s[2:3], v1, v8, s[2:3]
	s_cbranch_vccnz .LBB0_20
.LBB0_11:                               ; =>This Loop Header: Depth=1
                                        ;     Child Loop BB0_14 Depth 2
	s_and_b64 vcc, exec, s[0:1]
	s_cbranch_vccnz .LBB0_10
; %bb.12:                               ;   in Loop: Header=BB0_11 Depth=1
	v_mov_b32_e32 v6, s28
	v_mad_u64_u32 v[6:7], s[2:3], s10, v6, v[2:3]
	s_mul_i32 s2, s11, s28
	s_mul_i32 s3, s10, s33
	s_add_i32 s3, s3, s2
	v_add_u32_e32 v7, s3, v7
	v_cmp_lt_i64_e32 vcc, -1, v[6:7]
	v_cmp_gt_i64_e64 s[2:3], s[12:13], v[6:7]
	v_lshlrev_b64 v[6:7], 2, v[6:7]
	v_mov_b32_e32 v9, v1
	s_and_b64 s[6:7], vcc, s[2:3]
	v_mov_b32_e32 v8, v0
	s_mov_b64 s[20:21], s[8:9]
	s_branch .LBB0_14
.LBB0_13:                               ;   in Loop: Header=BB0_14 Depth=2
	s_or_b64 exec, exec, s[2:3]
	s_add_u32 s20, s20, 0xffff
	v_mov_b32_e32 v10, s24
	s_addc_u32 s21, s21, 0
	v_mov_b32_e32 v11, s25
	v_cmp_ge_i64_e32 vcc, s[20:21], v[10:11]
	global_store_short v[8:9], v14, off
	v_mov_b32_e32 v14, s35
	v_add_co_u32_e64 v8, s[2:3], s36, v8
	v_addc_co_u32_e64 v9, s[2:3], v9, v14, s[2:3]
	s_cbranch_vccnz .LBB0_10
.LBB0_14:                               ;   Parent Loop BB0_11 Depth=1
                                        ; =>  This Inner Loop Header: Depth=2
	s_or_b64 s[2:3], s[20:21], s[16:17]
	s_mov_b32 s5, s3
	s_cmp_lg_u64 s[4:5], 0
	s_cbranch_scc0 .LBB0_19
; %bb.15:                               ;   in Loop: Header=BB0_14 Depth=2
	s_ashr_i32 s2, s17, 31
	s_add_u32 s26, s16, s2
	s_mov_b32 s3, s2
	s_addc_u32 s27, s17, s2
	s_xor_b64 s[26:27], s[26:27], s[2:3]
	v_cvt_f32_u32_e32 v10, s26
	v_cvt_f32_u32_e32 v11, s27
	s_sub_u32 s5, 0, s26
	s_subb_u32 s39, 0, s27
	v_mac_f32_e32 v10, 0x4f800000, v11
	v_rcp_f32_e32 v10, v10
	v_mul_f32_e32 v10, 0x5f7ffffc, v10
	v_mul_f32_e32 v11, 0x2f800000, v10
	v_trunc_f32_e32 v11, v11
	v_mac_f32_e32 v10, 0xcf800000, v11
	v_cvt_u32_f32_e32 v11, v11
	v_cvt_u32_f32_e32 v10, v10
	v_readfirstlane_b32 s42, v11
	v_readfirstlane_b32 s40, v10
	s_mul_i32 s41, s5, s42
	s_mul_hi_u32 s44, s5, s40
	s_mul_i32 s43, s39, s40
	s_add_i32 s41, s44, s41
	s_add_i32 s41, s41, s43
	s_mul_i32 s45, s5, s40
	s_mul_i32 s44, s40, s41
	s_mul_hi_u32 s46, s40, s45
	s_mul_hi_u32 s43, s40, s41
	s_add_u32 s44, s46, s44
	s_addc_u32 s43, 0, s43
	s_mul_hi_u32 s47, s42, s45
	s_mul_i32 s45, s42, s45
	s_add_u32 s44, s44, s45
	s_mul_hi_u32 s46, s42, s41
	s_addc_u32 s43, s43, s47
	s_addc_u32 s44, s46, 0
	s_mul_i32 s41, s42, s41
	s_add_u32 s41, s43, s41
	s_addc_u32 s43, 0, s44
	s_add_u32 s44, s40, s41
	s_cselect_b64 s[40:41], -1, 0
	s_cmp_lg_u64 s[40:41], 0
	s_addc_u32 s42, s42, s43
	s_mul_i32 s40, s5, s42
	s_mul_hi_u32 s41, s5, s44
	s_add_i32 s40, s41, s40
	s_mul_i32 s39, s39, s44
	s_add_i32 s40, s40, s39
	s_mul_i32 s5, s5, s44
	s_mul_hi_u32 s41, s42, s5
	s_mul_i32 s43, s42, s5
	s_mul_i32 s46, s44, s40
	s_mul_hi_u32 s5, s44, s5
	s_mul_hi_u32 s45, s44, s40
	s_add_u32 s5, s5, s46
	s_addc_u32 s45, 0, s45
	s_add_u32 s5, s5, s43
	s_mul_hi_u32 s39, s42, s40
	s_addc_u32 s5, s45, s41
	s_addc_u32 s39, s39, 0
	s_mul_i32 s40, s42, s40
	s_add_u32 s5, s5, s40
	s_addc_u32 s39, 0, s39
	s_add_u32 s5, s44, s5
	s_cselect_b64 s[40:41], -1, 0
	s_cmp_lg_u64 s[40:41], 0
	s_addc_u32 s39, s42, s39
	s_ashr_i32 s40, s21, 31
	s_add_u32 s42, s20, s40
	s_mov_b32 s41, s40
	s_addc_u32 s43, s21, s40
	s_xor_b64 s[42:43], s[42:43], s[40:41]
	s_mul_i32 s45, s42, s39
	s_mul_hi_u32 s46, s42, s5
	s_mul_hi_u32 s44, s42, s39
	s_add_u32 s45, s46, s45
	s_addc_u32 s44, 0, s44
	s_mul_hi_u32 s47, s43, s5
	s_mul_i32 s5, s43, s5
	s_add_u32 s5, s45, s5
	s_mul_hi_u32 s46, s43, s39
	s_addc_u32 s5, s44, s47
	s_addc_u32 s44, s46, 0
	s_mul_i32 s39, s43, s39
	s_add_u32 s5, s5, s39
	s_addc_u32 s39, 0, s44
	s_mul_i32 s44, s26, s39
	s_mul_hi_u32 s45, s26, s5
	s_add_i32 s44, s45, s44
	s_mul_i32 s45, s27, s5
	s_add_i32 s48, s44, s45
	s_sub_i32 s46, s43, s48
	s_mul_i32 s44, s26, s5
	s_sub_u32 s42, s42, s44
	s_cselect_b64 s[44:45], -1, 0
	s_cmp_lg_u64 s[44:45], 0
	s_subb_u32 s49, s46, s27
	s_sub_u32 s50, s42, s26
	s_cselect_b64 s[46:47], -1, 0
	s_cmp_lg_u64 s[46:47], 0
	s_subb_u32 s46, s49, 0
	s_cmp_ge_u32 s46, s27
	s_cselect_b32 s47, -1, 0
	s_cmp_ge_u32 s50, s26
	s_cselect_b32 s49, -1, 0
	s_cmp_eq_u32 s46, s27
	s_cselect_b32 s46, s49, s47
	s_add_u32 s47, s5, 1
	s_addc_u32 s49, s39, 0
	s_add_u32 s50, s5, 2
	s_addc_u32 s51, s39, 0
	s_cmp_lg_u32 s46, 0
	s_cselect_b32 s46, s50, s47
	s_cselect_b32 s47, s51, s49
	s_cmp_lg_u64 s[44:45], 0
	s_subb_u32 s43, s43, s48
	s_cmp_ge_u32 s43, s27
	s_cselect_b32 s44, -1, 0
	s_cmp_ge_u32 s42, s26
	s_cselect_b32 s26, -1, 0
	s_cmp_eq_u32 s43, s27
	s_cselect_b32 s26, s26, s44
	s_cmp_lg_u32 s26, 0
	s_cselect_b32 s27, s47, s39
	s_cselect_b32 s26, s46, s5
	s_xor_b64 s[2:3], s[40:41], s[2:3]
	s_xor_b64 s[26:27], s[26:27], s[2:3]
	s_sub_u32 s26, s26, s2
	s_subb_u32 s27, s27, s3
	s_cbranch_execnz .LBB0_17
.LBB0_16:                               ;   in Loop: Header=BB0_14 Depth=2
	v_cvt_f32_u32_e32 v10, s16
	s_sub_i32 s2, 0, s16
	s_mov_b32 s27, s4
	v_rcp_iflag_f32_e32 v10, v10
	v_mul_f32_e32 v10, 0x4f7ffffe, v10
	v_cvt_u32_f32_e32 v10, v10
	v_readfirstlane_b32 s3, v10
	s_mul_i32 s2, s2, s3
	s_mul_hi_u32 s2, s3, s2
	s_add_i32 s3, s3, s2
	s_mul_hi_u32 s2, s20, s3
	s_mul_i32 s5, s2, s16
	s_sub_i32 s5, s20, s5
	s_add_i32 s3, s2, 1
	s_sub_i32 s26, s5, s16
	s_cmp_ge_u32 s5, s16
	s_cselect_b32 s2, s3, s2
	s_cselect_b32 s5, s26, s5
	s_add_i32 s3, s2, 1
	s_cmp_ge_u32 s5, s16
	s_cselect_b32 s26, s3, s2
.LBB0_17:                               ;   in Loop: Header=BB0_14 Depth=2
	s_mul_i32 s2, s37, s27
	s_mul_hi_u32 s3, s37, s26
	s_add_i32 s2, s3, s2
	s_mul_i32 s3, s38, s26
	s_add_i32 s2, s2, s3
	s_mul_i32 s3, s37, s26
	s_add_u32 s5, s20, s3
	v_mov_b32_e32 v10, s29
	s_addc_u32 s39, s21, s2
	v_mad_u64_u32 v[10:11], s[2:3], s5, v10, v[4:5]
	s_mul_i32 s39, s39, s29
	s_mul_i32 s2, s5, s30
	s_add_i32 s2, s2, s39
	v_add_u32_e32 v11, s2, v11
	v_cmp_lt_i64_e32 vcc, -1, v[10:11]
	v_cmp_gt_i64_e64 s[2:3], s[14:15], v[10:11]
	v_mov_b32_e32 v14, 0
	s_and_b64 s[2:3], vcc, s[2:3]
	s_and_b64 s[40:41], s[2:3], s[6:7]
	s_and_saveexec_b64 s[2:3], s[40:41]
	s_cbranch_execz .LBB0_13
; %bb.18:                               ;   in Loop: Header=BB0_14 Depth=2
	v_mul_lo_u32 v14, v11, s12
	v_mul_lo_u32 v15, v10, s13
	v_mad_u64_u32 v[10:11], s[40:41], v10, s12, 0
	s_mul_i32 s5, s26, s23
	s_mul_hi_u32 s39, s26, s22
	s_add_i32 s5, s39, s5
	s_mul_i32 s27, s27, s22
	s_add_i32 s27, s5, s27
	s_mul_i32 s26, s26, s22
	v_add3_u32 v11, v11, v15, v14
	s_lshl_b64 s[26:27], s[26:27], 2
	v_mov_b32_e32 v14, s27
	v_add_co_u32_e32 v15, vcc, s26, v12
	v_lshlrev_b64 v[10:11], 2, v[10:11]
	v_addc_co_u32_e32 v14, vcc, v13, v14, vcc
	v_add_co_u32_e32 v10, vcc, v15, v10
	v_addc_co_u32_e32 v11, vcc, v14, v11, vcc
	v_add_co_u32_e32 v10, vcc, v10, v6
	v_addc_co_u32_e32 v11, vcc, v11, v7, vcc
	global_load_dword v10, v[10:11], off
	s_waitcnt vmcnt(0)
	v_cvt_f16_f32_e32 v14, v10
	s_branch .LBB0_13
.LBB0_19:                               ;   in Loop: Header=BB0_14 Depth=2
                                        ; implicit-def: $sgpr26_sgpr27
	s_branch .LBB0_16
.LBB0_20:
	s_endpgm
.LBB0_21:
                                        ; implicit-def: $vgpr4_vgpr5
	s_branch .LBB0_4
	.section	.rodata,"a",@progbits
	.p2align	6, 0x0
	.amdhsa_kernel _ZL13im2col_kernelI6__halfEvPKfPT_lllllllllllliiiiii
		.amdhsa_group_segment_fixed_size 0
		.amdhsa_private_segment_fixed_size 0
		.amdhsa_kernarg_size 392
		.amdhsa_user_sgpr_count 6
		.amdhsa_user_sgpr_private_segment_buffer 1
		.amdhsa_user_sgpr_dispatch_ptr 0
		.amdhsa_user_sgpr_queue_ptr 0
		.amdhsa_user_sgpr_kernarg_segment_ptr 1
		.amdhsa_user_sgpr_dispatch_id 0
		.amdhsa_user_sgpr_flat_scratch_init 0
		.amdhsa_user_sgpr_private_segment_size 0
		.amdhsa_uses_dynamic_stack 0
		.amdhsa_system_sgpr_private_segment_wavefront_offset 0
		.amdhsa_system_sgpr_workgroup_id_x 1
		.amdhsa_system_sgpr_workgroup_id_y 1
		.amdhsa_system_sgpr_workgroup_id_z 1
		.amdhsa_system_sgpr_workgroup_info 0
		.amdhsa_system_vgpr_workitem_id 0
		.amdhsa_next_free_vgpr 17
		.amdhsa_next_free_sgpr 52
		.amdhsa_reserve_vcc 1
		.amdhsa_reserve_flat_scratch 0
		.amdhsa_float_round_mode_32 0
		.amdhsa_float_round_mode_16_64 0
		.amdhsa_float_denorm_mode_32 3
		.amdhsa_float_denorm_mode_16_64 3
		.amdhsa_dx10_clamp 1
		.amdhsa_ieee_mode 1
		.amdhsa_fp16_overflow 0
		.amdhsa_exception_fp_ieee_invalid_op 0
		.amdhsa_exception_fp_denorm_src 0
		.amdhsa_exception_fp_ieee_div_zero 0
		.amdhsa_exception_fp_ieee_overflow 0
		.amdhsa_exception_fp_ieee_underflow 0
		.amdhsa_exception_fp_ieee_inexact 0
		.amdhsa_exception_int_div_zero 0
	.end_amdhsa_kernel
	.section	.text._ZL13im2col_kernelI6__halfEvPKfPT_lllllllllllliiiiii,"axG",@progbits,_ZL13im2col_kernelI6__halfEvPKfPT_lllllllllllliiiiii,comdat
.Lfunc_end0:
	.size	_ZL13im2col_kernelI6__halfEvPKfPT_lllllllllllliiiiii, .Lfunc_end0-_ZL13im2col_kernelI6__halfEvPKfPT_lllllllllllliiiiii
                                        ; -- End function
	.set _ZL13im2col_kernelI6__halfEvPKfPT_lllllllllllliiiiii.num_vgpr, 17
	.set _ZL13im2col_kernelI6__halfEvPKfPT_lllllllllllliiiiii.num_agpr, 0
	.set _ZL13im2col_kernelI6__halfEvPKfPT_lllllllllllliiiiii.numbered_sgpr, 52
	.set _ZL13im2col_kernelI6__halfEvPKfPT_lllllllllllliiiiii.num_named_barrier, 0
	.set _ZL13im2col_kernelI6__halfEvPKfPT_lllllllllllliiiiii.private_seg_size, 0
	.set _ZL13im2col_kernelI6__halfEvPKfPT_lllllllllllliiiiii.uses_vcc, 1
	.set _ZL13im2col_kernelI6__halfEvPKfPT_lllllllllllliiiiii.uses_flat_scratch, 0
	.set _ZL13im2col_kernelI6__halfEvPKfPT_lllllllllllliiiiii.has_dyn_sized_stack, 0
	.set _ZL13im2col_kernelI6__halfEvPKfPT_lllllllllllliiiiii.has_recursion, 0
	.set _ZL13im2col_kernelI6__halfEvPKfPT_lllllllllllliiiiii.has_indirect_call, 0
	.section	.AMDGPU.csdata,"",@progbits
; Kernel info:
; codeLenInByte = 3076
; TotalNumSgprs: 56
; NumVgprs: 17
; ScratchSize: 0
; MemoryBound: 0
; FloatMode: 240
; IeeeMode: 1
; LDSByteSize: 0 bytes/workgroup (compile time only)
; SGPRBlocks: 6
; VGPRBlocks: 4
; NumSGPRsForWavesPerEU: 56
; NumVGPRsForWavesPerEU: 17
; Occupancy: 10
; WaveLimiterHint : 1
; COMPUTE_PGM_RSRC2:SCRATCH_EN: 0
; COMPUTE_PGM_RSRC2:USER_SGPR: 6
; COMPUTE_PGM_RSRC2:TRAP_HANDLER: 0
; COMPUTE_PGM_RSRC2:TGID_X_EN: 1
; COMPUTE_PGM_RSRC2:TGID_Y_EN: 1
; COMPUTE_PGM_RSRC2:TGID_Z_EN: 1
; COMPUTE_PGM_RSRC2:TIDIG_COMP_CNT: 0
	.section	.text._ZL13im2col_kernelIfEvPKfPT_lllllllllllliiiiii,"axG",@progbits,_ZL13im2col_kernelIfEvPKfPT_lllllllllllliiiiii,comdat
	.globl	_ZL13im2col_kernelIfEvPKfPT_lllllllllllliiiiii ; -- Begin function _ZL13im2col_kernelIfEvPKfPT_lllllllllllliiiiii
	.p2align	8
	.type	_ZL13im2col_kernelIfEvPKfPT_lllllllllllliiiiii,@function
_ZL13im2col_kernelIfEvPKfPT_lllllllllllliiiiii: ; @_ZL13im2col_kernelIfEvPKfPT_lllllllllllliiiiii
; %bb.0:
	s_load_dword s0, s[4:5], 0x94
	s_load_dwordx2 s[34:35], s[4:5], 0x68
	v_mov_b32_e32 v1, 0
	s_waitcnt lgkmcnt(0)
	s_and_b32 s0, s0, 0xffff
	s_mul_i32 s6, s6, s0
	v_add_u32_e32 v0, s6, v0
	v_cmp_gt_i64_e32 vcc, s[34:35], v[0:1]
	s_and_saveexec_b64 s[0:1], vcc
	s_cbranch_execz .LBB1_20
; %bb.1:
	s_load_dwordx8 s[12:19], s[4:5], 0x18
	s_mov_b32 s10, s7
	s_mov_b32 s11, 0
	v_mov_b32_e32 v2, s10
	v_mov_b32_e32 v3, s11
	s_waitcnt lgkmcnt(0)
	v_cmp_le_i64_e32 vcc, s[18:19], v[2:3]
	s_cbranch_vccnz .LBB1_20
; %bb.2:
	s_load_dwordx8 s[20:27], s[4:5], 0x48
	s_load_dwordx2 s[2:3], s[4:5], 0x38
	s_mov_b32 s0, s11
	s_waitcnt lgkmcnt(0)
	s_mov_b32 s1, s27
	s_cmp_lg_u64 s[0:1], 0
	s_cbranch_scc0 .LBB1_21
; %bb.3:
	s_ashr_i32 s6, s27, 31
	s_add_u32 s0, s26, s6
	s_mov_b32 s7, s6
	s_addc_u32 s1, s27, s6
	s_xor_b64 s[28:29], s[0:1], s[6:7]
	v_cvt_f32_u32_e32 v2, s28
	v_cvt_f32_u32_e32 v3, s29
	s_sub_u32 s7, 0, s28
	s_subb_u32 s9, 0, s29
	v_add_co_u32_e32 v6, vcc, 0, v0
	v_madmk_f32 v2, v3, 0x4f800000, v2
	v_rcp_f32_e32 v2, v2
	v_mul_f32_e32 v2, 0x5f7ffffc, v2
	v_mul_f32_e32 v3, 0x2f800000, v2
	v_trunc_f32_e32 v3, v3
	v_madmk_f32 v2, v3, 0xcf800000, v2
	v_cvt_u32_f32_e32 v3, v3
	v_cvt_u32_f32_e32 v2, v2
	v_readfirstlane_b32 s30, v3
	v_readfirstlane_b32 s0, v2
	s_mul_i32 s1, s7, s30
	s_mul_hi_u32 s33, s7, s0
	s_mul_i32 s31, s9, s0
	s_add_i32 s1, s33, s1
	s_add_i32 s1, s1, s31
	s_mul_i32 s36, s7, s0
	s_mul_i32 s33, s0, s1
	s_mul_hi_u32 s37, s0, s36
	s_mul_hi_u32 s31, s0, s1
	s_add_u32 s33, s37, s33
	s_addc_u32 s31, 0, s31
	s_mul_hi_u32 s38, s30, s36
	s_mul_i32 s36, s30, s36
	s_add_u32 s33, s33, s36
	s_mul_hi_u32 s37, s30, s1
	s_addc_u32 s31, s31, s38
	s_addc_u32 s33, s37, 0
	s_mul_i32 s1, s30, s1
	s_add_u32 s1, s31, s1
	s_addc_u32 s31, 0, s33
	s_add_u32 s33, s0, s1
	s_cselect_b64 s[0:1], -1, 0
	s_cmp_lg_u64 s[0:1], 0
	s_addc_u32 s30, s30, s31
	s_mul_i32 s0, s7, s30
	s_mul_hi_u32 s1, s7, s33
	s_add_i32 s0, s1, s0
	s_mul_i32 s9, s9, s33
	s_add_i32 s0, s0, s9
	s_mul_i32 s7, s7, s33
	s_mul_hi_u32 s9, s30, s7
	s_mul_i32 s31, s30, s7
	s_mul_i32 s37, s33, s0
	s_mul_hi_u32 s7, s33, s7
	s_mul_hi_u32 s36, s33, s0
	s_add_u32 s7, s7, s37
	s_addc_u32 s36, 0, s36
	s_add_u32 s7, s7, s31
	s_mul_hi_u32 s1, s30, s0
	s_addc_u32 s7, s36, s9
	s_addc_u32 s1, s1, 0
	s_mul_i32 s0, s30, s0
	s_add_u32 s0, s7, s0
	s_addc_u32 s7, 0, s1
	s_add_u32 s9, s33, s0
	s_cselect_b64 s[0:1], -1, 0
	s_cmp_lg_u64 s[0:1], 0
	s_addc_u32 s7, s30, s7
	v_mad_u64_u32 v[2:3], s[0:1], v6, s7, 0
	v_mul_hi_u32 v4, v6, s9
	v_addc_co_u32_e64 v7, s[0:1], 0, 0, vcc
	v_add_co_u32_e32 v8, vcc, v4, v2
	v_addc_co_u32_e32 v9, vcc, 0, v3, vcc
	v_mad_u64_u32 v[2:3], s[0:1], v7, s9, 0
	v_mad_u64_u32 v[4:5], s[0:1], v7, s7, 0
	v_add_co_u32_e32 v2, vcc, v8, v2
	v_addc_co_u32_e32 v2, vcc, v9, v3, vcc
	v_addc_co_u32_e32 v3, vcc, 0, v5, vcc
	v_add_co_u32_e32 v4, vcc, v2, v4
	v_addc_co_u32_e32 v5, vcc, 0, v3, vcc
	v_mul_lo_u32 v8, s29, v4
	v_mul_lo_u32 v9, s28, v5
	v_mad_u64_u32 v[2:3], s[0:1], s28, v4, 0
	v_add3_u32 v3, v3, v9, v8
	v_sub_u32_e32 v8, v7, v3
	v_mov_b32_e32 v9, s29
	v_sub_co_u32_e32 v2, vcc, v6, v2
	v_subb_co_u32_e64 v6, s[0:1], v8, v9, vcc
	v_subrev_co_u32_e64 v8, s[0:1], s28, v2
	v_subbrev_co_u32_e64 v6, s[0:1], 0, v6, s[0:1]
	v_cmp_le_u32_e64 s[0:1], s29, v6
	v_cndmask_b32_e64 v9, 0, -1, s[0:1]
	v_cmp_le_u32_e64 s[0:1], s28, v8
	v_cndmask_b32_e64 v8, 0, -1, s[0:1]
	v_cmp_eq_u32_e64 s[0:1], s29, v6
	v_cndmask_b32_e64 v6, v9, v8, s[0:1]
	v_add_co_u32_e64 v8, s[0:1], 2, v4
	v_subb_co_u32_e32 v3, vcc, v7, v3, vcc
	v_addc_co_u32_e64 v9, s[0:1], 0, v5, s[0:1]
	v_cmp_le_u32_e32 vcc, s29, v3
	v_add_co_u32_e64 v10, s[0:1], 1, v4
	v_cndmask_b32_e64 v7, 0, -1, vcc
	v_cmp_le_u32_e32 vcc, s28, v2
	v_addc_co_u32_e64 v11, s[0:1], 0, v5, s[0:1]
	v_cndmask_b32_e64 v2, 0, -1, vcc
	v_cmp_eq_u32_e32 vcc, s29, v3
	v_cmp_ne_u32_e64 s[0:1], 0, v6
	v_cndmask_b32_e32 v2, v7, v2, vcc
	v_cmp_ne_u32_e32 vcc, 0, v2
	v_cndmask_b32_e64 v3, v10, v8, s[0:1]
	v_cndmask_b32_e64 v6, v11, v9, s[0:1]
	v_cndmask_b32_e32 v3, v4, v3, vcc
	v_cndmask_b32_e32 v2, v5, v6, vcc
	v_xor_b32_e32 v3, s6, v3
	v_xor_b32_e32 v2, s6, v2
	v_mov_b32_e32 v5, s6
	v_subrev_co_u32_e32 v4, vcc, s6, v3
	v_subb_co_u32_e32 v5, vcc, v2, v5, vcc
	s_cbranch_execnz .LBB1_5
.LBB1_4:
	v_cvt_f32_u32_e32 v2, s26
	s_sub_i32 s0, 0, s26
	v_rcp_iflag_f32_e32 v2, v2
	v_mul_f32_e32 v2, 0x4f7ffffe, v2
	v_cvt_u32_f32_e32 v2, v2
	v_mul_lo_u32 v3, s0, v2
	v_mul_hi_u32 v3, v2, v3
	v_add_u32_e32 v2, v2, v3
	v_mul_hi_u32 v2, v0, v2
	v_mul_lo_u32 v3, v2, s26
	v_add_u32_e32 v4, 1, v2
	v_sub_u32_e32 v3, v0, v3
	v_subrev_u32_e32 v5, s26, v3
	v_cmp_le_u32_e32 vcc, s26, v3
	v_cndmask_b32_e32 v3, v3, v5, vcc
	v_cndmask_b32_e32 v2, v2, v4, vcc
	v_add_u32_e32 v4, 1, v2
	v_cmp_le_u32_e32 vcc, s26, v3
	v_cndmask_b32_e32 v4, v2, v4, vcc
	v_mov_b32_e32 v5, 0
.LBB1_5:
	v_mul_lo_u32 v6, v5, s26
	v_mul_lo_u32 v7, v4, s27
	v_mad_u64_u32 v[2:3], s[0:1], v4, s26, 0
	v_add3_u32 v3, v3, v7, v6
	v_sub_co_u32_e32 v6, vcc, v0, v2
	v_subb_co_u32_e32 v7, vcc, 0, v3, vcc
	v_or_b32_e32 v3, s3, v7
	v_mov_b32_e32 v2, 0
	v_cmp_ne_u64_e32 vcc, 0, v[2:3]
                                        ; implicit-def: $vgpr2_vgpr3
	s_and_saveexec_b64 s[0:1], vcc
	s_xor_b64 s[6:7], exec, s[0:1]
	s_cbranch_execz .LBB1_7
; %bb.6:
	s_ashr_i32 s26, s3, 31
	s_add_u32 s0, s2, s26
	s_mov_b32 s27, s26
	s_addc_u32 s1, s3, s26
	s_xor_b64 s[28:29], s[0:1], s[26:27]
	v_cvt_f32_u32_e32 v2, s28
	v_cvt_f32_u32_e32 v3, s29
	s_sub_u32 s9, 0, s28
	s_subb_u32 s27, 0, s29
	v_ashrrev_i32_e32 v10, 31, v7
	v_madmk_f32 v2, v3, 0x4f800000, v2
	v_rcp_f32_e32 v2, v2
	v_mul_f32_e32 v2, 0x5f7ffffc, v2
	v_mul_f32_e32 v3, 0x2f800000, v2
	v_trunc_f32_e32 v3, v3
	v_madmk_f32 v2, v3, 0xcf800000, v2
	v_cvt_u32_f32_e32 v3, v3
	v_cvt_u32_f32_e32 v2, v2
	v_readfirstlane_b32 s30, v3
	v_readfirstlane_b32 s0, v2
	s_mul_i32 s1, s9, s30
	s_mul_hi_u32 s33, s9, s0
	s_mul_i32 s31, s27, s0
	s_add_i32 s1, s33, s1
	s_add_i32 s1, s1, s31
	s_mul_i32 s36, s9, s0
	s_mul_i32 s33, s0, s1
	s_mul_hi_u32 s37, s0, s36
	s_mul_hi_u32 s31, s0, s1
	s_add_u32 s33, s37, s33
	s_addc_u32 s31, 0, s31
	s_mul_hi_u32 s38, s30, s36
	s_mul_i32 s36, s30, s36
	s_add_u32 s33, s33, s36
	s_mul_hi_u32 s37, s30, s1
	s_addc_u32 s31, s31, s38
	s_addc_u32 s33, s37, 0
	s_mul_i32 s1, s30, s1
	s_add_u32 s1, s31, s1
	s_addc_u32 s31, 0, s33
	s_add_u32 s33, s0, s1
	s_cselect_b64 s[0:1], -1, 0
	s_cmp_lg_u64 s[0:1], 0
	s_addc_u32 s30, s30, s31
	s_mul_i32 s0, s9, s30
	s_mul_hi_u32 s1, s9, s33
	s_add_i32 s0, s1, s0
	s_mul_i32 s27, s27, s33
	s_add_i32 s0, s0, s27
	s_mul_i32 s9, s9, s33
	s_mul_hi_u32 s27, s30, s9
	s_mul_i32 s31, s30, s9
	s_mul_i32 s37, s33, s0
	s_mul_hi_u32 s9, s33, s9
	s_mul_hi_u32 s36, s33, s0
	s_add_u32 s9, s9, s37
	s_addc_u32 s36, 0, s36
	s_add_u32 s9, s9, s31
	s_mul_hi_u32 s1, s30, s0
	s_addc_u32 s9, s36, s27
	s_addc_u32 s1, s1, 0
	s_mul_i32 s0, s30, s0
	s_add_u32 s0, s9, s0
	s_addc_u32 s9, 0, s1
	s_add_u32 s27, s33, s0
	s_cselect_b64 s[0:1], -1, 0
	s_cmp_lg_u64 s[0:1], 0
	v_add_co_u32_e32 v2, vcc, v6, v10
	s_addc_u32 s9, s30, s9
	v_xor_b32_e32 v11, v2, v10
	v_mad_u64_u32 v[2:3], s[0:1], v11, s9, 0
	v_mul_hi_u32 v9, v11, s27
	v_addc_co_u32_e32 v8, vcc, v7, v10, vcc
	v_xor_b32_e32 v12, v8, v10
	v_add_co_u32_e32 v13, vcc, v9, v2
	v_addc_co_u32_e32 v14, vcc, 0, v3, vcc
	v_mad_u64_u32 v[2:3], s[0:1], v12, s27, 0
	v_mad_u64_u32 v[8:9], s[0:1], v12, s9, 0
	v_add_co_u32_e32 v2, vcc, v13, v2
	v_addc_co_u32_e32 v2, vcc, v14, v3, vcc
	v_addc_co_u32_e32 v3, vcc, 0, v9, vcc
	v_add_co_u32_e32 v8, vcc, v2, v8
	v_addc_co_u32_e32 v9, vcc, 0, v3, vcc
	v_mul_lo_u32 v13, s29, v8
	v_mul_lo_u32 v14, s28, v9
	v_mad_u64_u32 v[2:3], s[0:1], s28, v8, 0
	v_add3_u32 v3, v3, v14, v13
	v_sub_u32_e32 v13, v12, v3
	v_mov_b32_e32 v14, s29
	v_sub_co_u32_e32 v2, vcc, v11, v2
	v_subb_co_u32_e64 v11, s[0:1], v13, v14, vcc
	v_subrev_co_u32_e64 v13, s[0:1], s28, v2
	v_subbrev_co_u32_e64 v11, s[0:1], 0, v11, s[0:1]
	v_cmp_le_u32_e64 s[0:1], s29, v11
	v_cndmask_b32_e64 v14, 0, -1, s[0:1]
	v_cmp_le_u32_e64 s[0:1], s28, v13
	v_cndmask_b32_e64 v13, 0, -1, s[0:1]
	v_cmp_eq_u32_e64 s[0:1], s29, v11
	v_cndmask_b32_e64 v11, v14, v13, s[0:1]
	v_add_co_u32_e64 v13, s[0:1], 2, v8
	v_subb_co_u32_e32 v3, vcc, v12, v3, vcc
	v_addc_co_u32_e64 v14, s[0:1], 0, v9, s[0:1]
	v_cmp_le_u32_e32 vcc, s29, v3
	v_add_co_u32_e64 v15, s[0:1], 1, v8
	v_cndmask_b32_e64 v12, 0, -1, vcc
	v_cmp_le_u32_e32 vcc, s28, v2
	v_addc_co_u32_e64 v16, s[0:1], 0, v9, s[0:1]
	v_cndmask_b32_e64 v2, 0, -1, vcc
	v_cmp_eq_u32_e32 vcc, s29, v3
	v_cmp_ne_u32_e64 s[0:1], 0, v11
	v_cndmask_b32_e32 v2, v12, v2, vcc
	v_cndmask_b32_e64 v11, v16, v14, s[0:1]
	v_cmp_ne_u32_e32 vcc, 0, v2
	v_cndmask_b32_e64 v3, v15, v13, s[0:1]
	v_cndmask_b32_e32 v2, v9, v11, vcc
	v_cndmask_b32_e32 v3, v8, v3, vcc
	v_xor_b32_e32 v8, s26, v10
	v_xor_b32_e32 v9, v2, v8
	;; [unrolled: 1-line block ×3, first 2 shown]
	v_sub_co_u32_e32 v2, vcc, v2, v8
	v_subb_co_u32_e32 v3, vcc, v9, v8, vcc
.LBB1_7:
	s_andn2_saveexec_b64 s[0:1], s[6:7]
	s_cbranch_execz .LBB1_9
; %bb.8:
	v_cvt_f32_u32_e32 v2, s2
	s_sub_i32 s6, 0, s2
	v_rcp_iflag_f32_e32 v2, v2
	v_mul_f32_e32 v2, 0x4f7ffffe, v2
	v_cvt_u32_f32_e32 v2, v2
	v_mul_lo_u32 v3, s6, v2
	v_mul_hi_u32 v3, v2, v3
	v_add_u32_e32 v2, v2, v3
	v_mul_hi_u32 v2, v6, v2
	v_mul_lo_u32 v3, v2, s2
	v_add_u32_e32 v8, 1, v2
	v_sub_u32_e32 v3, v6, v3
	v_subrev_u32_e32 v9, s2, v3
	v_cmp_le_u32_e32 vcc, s2, v3
	v_cndmask_b32_e32 v3, v3, v9, vcc
	v_cndmask_b32_e32 v2, v2, v8, vcc
	v_add_u32_e32 v8, 1, v2
	v_cmp_le_u32_e32 vcc, s2, v3
	v_cndmask_b32_e32 v2, v2, v8, vcc
	v_mov_b32_e32 v3, 0
.LBB1_9:
	s_or_b64 exec, exec, s[0:1]
	v_mad_u64_u32 v[8:9], s[0:1], v2, s2, 0
	v_mul_lo_u32 v10, v3, s2
	v_mul_lo_u32 v11, v2, s3
	s_load_dwordx4 s[0:3], s[4:5], 0x0
	s_load_dwordx4 s[28:31], s[4:5], 0x70
	s_load_dwordx2 s[6:7], s[4:5], 0x80
	v_sub_co_u32_e32 v6, vcc, v6, v8
	v_add3_u32 v9, v9, v11, v10
	v_subb_co_u32_e32 v7, vcc, v7, v9, vcc
	s_waitcnt lgkmcnt(0)
	s_ashr_i32 s5, s6, 31
	v_mul_lo_u32 v10, v7, s6
	v_mul_lo_u32 v11, v6, s5
	v_mad_u64_u32 v[6:7], s[26:27], v6, s6, 0
	s_ashr_i32 s5, s30, 31
	v_mov_b32_e32 v12, s5
	s_ashr_i32 s5, s7, 31
	v_add3_u32 v7, v7, v11, v10
	v_mul_lo_u32 v13, v3, s7
	v_mul_lo_u32 v14, v2, s5
	v_mad_u64_u32 v[10:11], s[6:7], v2, s7, 0
	v_subrev_co_u32_e32 v2, vcc, s30, v6
	v_subb_co_u32_e32 v3, vcc, v7, v12, vcc
	v_add3_u32 v11, v11, v14, v13
	v_mul_lo_u32 v13, v5, s20
	v_mul_lo_u32 v14, v4, s21
	v_mad_u64_u32 v[6:7], s[6:7], v4, s20, 0
	s_ashr_i32 s5, s31, 31
	v_mov_b32_e32 v12, s5
	v_add3_u32 v7, v7, v14, v13
	v_subrev_co_u32_e32 v4, vcc, s31, v10
	v_lshlrev_b64 v[6:7], 2, v[6:7]
	v_subb_co_u32_e32 v5, vcc, v11, v12, vcc
	v_mov_b32_e32 v10, s1
	v_add_co_u32_e32 v12, vcc, s0, v6
	s_mul_i32 s0, s19, s8
	s_mul_hi_u32 s1, s18, s8
	s_ashr_i32 s33, s28, 31
	s_ashr_i32 s30, s29, 31
	s_add_i32 s1, s1, s0
	s_mul_i32 s0, s18, s8
	s_add_u32 s0, s0, s10
	s_addc_u32 s1, s1, 0
	s_mul_i32 s1, s34, s1
	s_mul_hi_u32 s5, s34, s0
	s_add_i32 s1, s5, s1
	s_mul_i32 s5, s35, s0
	s_add_i32 s1, s1, s5
	s_mul_i32 s0, s34, s0
	s_lshl_b64 s[0:1], s[0:1], 2
	v_lshlrev_b64 v[0:1], 2, v[0:1]
	s_add_u32 s0, s2, s0
	s_mov_b32 s4, 0
	v_addc_co_u32_e32 v13, vcc, v10, v7, vcc
	s_addc_u32 s1, s3, s1
	s_mov_b32 s9, s4
	v_mov_b32_e32 v8, s8
	v_mov_b32_e32 v6, s1
	v_add_co_u32_e32 v0, vcc, s0, v0
	s_mul_i32 s0, s35, 0x3fffc
	s_mul_hi_u32 s1, s34, 0x3fffc
	s_mul_i32 s34, s34, 0x3fffc
	v_mov_b32_e32 v9, s9
	v_addc_co_u32_e32 v1, vcc, v6, v1, vcc
	s_add_i32 s31, s1, s0
	s_mul_i32 s1, s34, s19
	s_mul_hi_u32 s2, s34, s18
	s_mul_i32 s0, s31, s18
	s_add_i32 s1, s2, s1
	v_cmp_gt_i64_e32 vcc, s[24:25], v[8:9]
	s_add_i32 s35, s1, s0
	s_sub_u32 s37, 0, s16
	v_cndmask_b32_e64 v6, 0, 1, vcc
	s_mul_i32 s36, s34, s18
	s_subb_u32 s38, 0, s17
	v_cmp_ne_u32_e64 s[0:1], 1, v6
	s_branch .LBB1_11
.LBB1_10:                               ;   in Loop: Header=BB1_11 Depth=1
	s_add_u32 s10, s10, 0xffff
	v_mov_b32_e32 v6, s18
	s_addc_u32 s11, s11, 0
	v_mov_b32_e32 v7, s19
	v_cmp_ge_i64_e32 vcc, s[10:11], v[6:7]
	v_mov_b32_e32 v8, s31
	v_add_co_u32_e64 v0, s[2:3], s34, v0
	v_addc_co_u32_e64 v1, s[2:3], v1, v8, s[2:3]
	s_cbranch_vccnz .LBB1_20
.LBB1_11:                               ; =>This Loop Header: Depth=1
                                        ;     Child Loop BB1_14 Depth 2
	s_and_b64 vcc, exec, s[0:1]
	s_cbranch_vccnz .LBB1_10
; %bb.12:                               ;   in Loop: Header=BB1_11 Depth=1
	v_mov_b32_e32 v6, s28
	v_mad_u64_u32 v[6:7], s[2:3], s10, v6, v[2:3]
	s_mul_i32 s2, s11, s28
	s_mul_i32 s3, s10, s33
	s_add_i32 s3, s3, s2
	v_add_u32_e32 v7, s3, v7
	v_cmp_lt_i64_e32 vcc, -1, v[6:7]
	v_cmp_gt_i64_e64 s[2:3], s[12:13], v[6:7]
	v_lshlrev_b64 v[6:7], 2, v[6:7]
	v_mov_b32_e32 v9, v1
	s_and_b64 s[6:7], vcc, s[2:3]
	v_mov_b32_e32 v8, v0
	s_mov_b64 s[20:21], s[8:9]
	s_branch .LBB1_14
.LBB1_13:                               ;   in Loop: Header=BB1_14 Depth=2
	s_or_b64 exec, exec, s[2:3]
	s_add_u32 s20, s20, 0xffff
	v_mov_b32_e32 v10, s24
	s_addc_u32 s21, s21, 0
	v_mov_b32_e32 v11, s25
	v_cmp_ge_i64_e32 vcc, s[20:21], v[10:11]
	s_waitcnt vmcnt(0)
	global_store_dword v[8:9], v14, off
	v_mov_b32_e32 v14, s35
	v_add_co_u32_e64 v8, s[2:3], s36, v8
	v_addc_co_u32_e64 v9, s[2:3], v9, v14, s[2:3]
	s_cbranch_vccnz .LBB1_10
.LBB1_14:                               ;   Parent Loop BB1_11 Depth=1
                                        ; =>  This Inner Loop Header: Depth=2
	s_or_b64 s[2:3], s[20:21], s[16:17]
	s_mov_b32 s5, s3
	s_cmp_lg_u64 s[4:5], 0
	s_cbranch_scc0 .LBB1_19
; %bb.15:                               ;   in Loop: Header=BB1_14 Depth=2
	s_ashr_i32 s2, s17, 31
	s_add_u32 s26, s16, s2
	s_mov_b32 s3, s2
	s_addc_u32 s27, s17, s2
	s_xor_b64 s[26:27], s[26:27], s[2:3]
	v_cvt_f32_u32_e32 v10, s26
	v_cvt_f32_u32_e32 v11, s27
	s_sub_u32 s5, 0, s26
	s_subb_u32 s39, 0, s27
	v_mac_f32_e32 v10, 0x4f800000, v11
	v_rcp_f32_e32 v10, v10
	v_mul_f32_e32 v10, 0x5f7ffffc, v10
	v_mul_f32_e32 v11, 0x2f800000, v10
	v_trunc_f32_e32 v11, v11
	v_mac_f32_e32 v10, 0xcf800000, v11
	v_cvt_u32_f32_e32 v11, v11
	v_cvt_u32_f32_e32 v10, v10
	v_readfirstlane_b32 s42, v11
	v_readfirstlane_b32 s40, v10
	s_mul_i32 s41, s5, s42
	s_mul_hi_u32 s44, s5, s40
	s_mul_i32 s43, s39, s40
	s_add_i32 s41, s44, s41
	s_add_i32 s41, s41, s43
	s_mul_i32 s45, s5, s40
	s_mul_i32 s44, s40, s41
	s_mul_hi_u32 s46, s40, s45
	s_mul_hi_u32 s43, s40, s41
	s_add_u32 s44, s46, s44
	s_addc_u32 s43, 0, s43
	s_mul_hi_u32 s47, s42, s45
	s_mul_i32 s45, s42, s45
	s_add_u32 s44, s44, s45
	s_mul_hi_u32 s46, s42, s41
	s_addc_u32 s43, s43, s47
	s_addc_u32 s44, s46, 0
	s_mul_i32 s41, s42, s41
	s_add_u32 s41, s43, s41
	s_addc_u32 s43, 0, s44
	s_add_u32 s44, s40, s41
	s_cselect_b64 s[40:41], -1, 0
	s_cmp_lg_u64 s[40:41], 0
	s_addc_u32 s42, s42, s43
	s_mul_i32 s40, s5, s42
	s_mul_hi_u32 s41, s5, s44
	s_add_i32 s40, s41, s40
	s_mul_i32 s39, s39, s44
	s_add_i32 s40, s40, s39
	s_mul_i32 s5, s5, s44
	s_mul_hi_u32 s41, s42, s5
	s_mul_i32 s43, s42, s5
	s_mul_i32 s46, s44, s40
	s_mul_hi_u32 s5, s44, s5
	s_mul_hi_u32 s45, s44, s40
	s_add_u32 s5, s5, s46
	s_addc_u32 s45, 0, s45
	s_add_u32 s5, s5, s43
	s_mul_hi_u32 s39, s42, s40
	s_addc_u32 s5, s45, s41
	s_addc_u32 s39, s39, 0
	s_mul_i32 s40, s42, s40
	s_add_u32 s5, s5, s40
	s_addc_u32 s39, 0, s39
	s_add_u32 s5, s44, s5
	s_cselect_b64 s[40:41], -1, 0
	s_cmp_lg_u64 s[40:41], 0
	s_addc_u32 s39, s42, s39
	s_ashr_i32 s40, s21, 31
	s_add_u32 s42, s20, s40
	s_mov_b32 s41, s40
	s_addc_u32 s43, s21, s40
	s_xor_b64 s[42:43], s[42:43], s[40:41]
	s_mul_i32 s45, s42, s39
	s_mul_hi_u32 s46, s42, s5
	s_mul_hi_u32 s44, s42, s39
	s_add_u32 s45, s46, s45
	s_addc_u32 s44, 0, s44
	s_mul_hi_u32 s47, s43, s5
	s_mul_i32 s5, s43, s5
	s_add_u32 s5, s45, s5
	s_mul_hi_u32 s46, s43, s39
	s_addc_u32 s5, s44, s47
	s_addc_u32 s44, s46, 0
	s_mul_i32 s39, s43, s39
	s_add_u32 s5, s5, s39
	s_addc_u32 s39, 0, s44
	s_mul_i32 s44, s26, s39
	s_mul_hi_u32 s45, s26, s5
	s_add_i32 s44, s45, s44
	s_mul_i32 s45, s27, s5
	s_add_i32 s48, s44, s45
	s_sub_i32 s46, s43, s48
	s_mul_i32 s44, s26, s5
	s_sub_u32 s42, s42, s44
	s_cselect_b64 s[44:45], -1, 0
	s_cmp_lg_u64 s[44:45], 0
	s_subb_u32 s49, s46, s27
	s_sub_u32 s50, s42, s26
	s_cselect_b64 s[46:47], -1, 0
	s_cmp_lg_u64 s[46:47], 0
	s_subb_u32 s46, s49, 0
	s_cmp_ge_u32 s46, s27
	s_cselect_b32 s47, -1, 0
	s_cmp_ge_u32 s50, s26
	s_cselect_b32 s49, -1, 0
	s_cmp_eq_u32 s46, s27
	s_cselect_b32 s46, s49, s47
	s_add_u32 s47, s5, 1
	s_addc_u32 s49, s39, 0
	s_add_u32 s50, s5, 2
	s_addc_u32 s51, s39, 0
	s_cmp_lg_u32 s46, 0
	s_cselect_b32 s46, s50, s47
	s_cselect_b32 s47, s51, s49
	s_cmp_lg_u64 s[44:45], 0
	s_subb_u32 s43, s43, s48
	s_cmp_ge_u32 s43, s27
	s_cselect_b32 s44, -1, 0
	s_cmp_ge_u32 s42, s26
	s_cselect_b32 s26, -1, 0
	s_cmp_eq_u32 s43, s27
	s_cselect_b32 s26, s26, s44
	s_cmp_lg_u32 s26, 0
	s_cselect_b32 s27, s47, s39
	s_cselect_b32 s26, s46, s5
	s_xor_b64 s[2:3], s[40:41], s[2:3]
	s_xor_b64 s[26:27], s[26:27], s[2:3]
	s_sub_u32 s26, s26, s2
	s_subb_u32 s27, s27, s3
	s_cbranch_execnz .LBB1_17
.LBB1_16:                               ;   in Loop: Header=BB1_14 Depth=2
	v_cvt_f32_u32_e32 v10, s16
	s_sub_i32 s2, 0, s16
	s_mov_b32 s27, s4
	v_rcp_iflag_f32_e32 v10, v10
	v_mul_f32_e32 v10, 0x4f7ffffe, v10
	v_cvt_u32_f32_e32 v10, v10
	v_readfirstlane_b32 s3, v10
	s_mul_i32 s2, s2, s3
	s_mul_hi_u32 s2, s3, s2
	s_add_i32 s3, s3, s2
	s_mul_hi_u32 s2, s20, s3
	s_mul_i32 s5, s2, s16
	s_sub_i32 s5, s20, s5
	s_add_i32 s3, s2, 1
	s_sub_i32 s26, s5, s16
	s_cmp_ge_u32 s5, s16
	s_cselect_b32 s2, s3, s2
	s_cselect_b32 s5, s26, s5
	s_add_i32 s3, s2, 1
	s_cmp_ge_u32 s5, s16
	s_cselect_b32 s26, s3, s2
.LBB1_17:                               ;   in Loop: Header=BB1_14 Depth=2
	s_mul_i32 s2, s37, s27
	s_mul_hi_u32 s3, s37, s26
	s_add_i32 s2, s3, s2
	s_mul_i32 s3, s38, s26
	s_add_i32 s2, s2, s3
	s_mul_i32 s3, s37, s26
	s_add_u32 s5, s20, s3
	v_mov_b32_e32 v10, s29
	s_addc_u32 s39, s21, s2
	v_mad_u64_u32 v[10:11], s[2:3], s5, v10, v[4:5]
	s_mul_i32 s39, s39, s29
	s_mul_i32 s2, s5, s30
	s_add_i32 s2, s2, s39
	v_add_u32_e32 v11, s2, v11
	v_cmp_lt_i64_e32 vcc, -1, v[10:11]
	v_cmp_gt_i64_e64 s[2:3], s[14:15], v[10:11]
	v_mov_b32_e32 v14, 0
	s_and_b64 s[2:3], vcc, s[2:3]
	s_and_b64 s[40:41], s[2:3], s[6:7]
	s_and_saveexec_b64 s[2:3], s[40:41]
	s_cbranch_execz .LBB1_13
; %bb.18:                               ;   in Loop: Header=BB1_14 Depth=2
	v_mul_lo_u32 v14, v11, s12
	v_mul_lo_u32 v15, v10, s13
	v_mad_u64_u32 v[10:11], s[40:41], v10, s12, 0
	s_mul_i32 s5, s26, s23
	s_mul_hi_u32 s39, s26, s22
	s_add_i32 s5, s39, s5
	s_mul_i32 s27, s27, s22
	s_add_i32 s27, s5, s27
	s_mul_i32 s26, s26, s22
	v_add3_u32 v11, v11, v15, v14
	s_lshl_b64 s[26:27], s[26:27], 2
	v_mov_b32_e32 v14, s27
	v_add_co_u32_e32 v15, vcc, s26, v12
	v_lshlrev_b64 v[10:11], 2, v[10:11]
	v_addc_co_u32_e32 v14, vcc, v13, v14, vcc
	v_add_co_u32_e32 v10, vcc, v15, v10
	v_addc_co_u32_e32 v11, vcc, v14, v11, vcc
	v_add_co_u32_e32 v10, vcc, v10, v6
	v_addc_co_u32_e32 v11, vcc, v11, v7, vcc
	global_load_dword v14, v[10:11], off
	s_branch .LBB1_13
.LBB1_19:                               ;   in Loop: Header=BB1_14 Depth=2
                                        ; implicit-def: $sgpr26_sgpr27
	s_branch .LBB1_16
.LBB1_20:
	s_endpgm
.LBB1_21:
                                        ; implicit-def: $vgpr4_vgpr5
	s_branch .LBB1_4
	.section	.rodata,"a",@progbits
	.p2align	6, 0x0
	.amdhsa_kernel _ZL13im2col_kernelIfEvPKfPT_lllllllllllliiiiii
		.amdhsa_group_segment_fixed_size 0
		.amdhsa_private_segment_fixed_size 0
		.amdhsa_kernarg_size 392
		.amdhsa_user_sgpr_count 6
		.amdhsa_user_sgpr_private_segment_buffer 1
		.amdhsa_user_sgpr_dispatch_ptr 0
		.amdhsa_user_sgpr_queue_ptr 0
		.amdhsa_user_sgpr_kernarg_segment_ptr 1
		.amdhsa_user_sgpr_dispatch_id 0
		.amdhsa_user_sgpr_flat_scratch_init 0
		.amdhsa_user_sgpr_private_segment_size 0
		.amdhsa_uses_dynamic_stack 0
		.amdhsa_system_sgpr_private_segment_wavefront_offset 0
		.amdhsa_system_sgpr_workgroup_id_x 1
		.amdhsa_system_sgpr_workgroup_id_y 1
		.amdhsa_system_sgpr_workgroup_id_z 1
		.amdhsa_system_sgpr_workgroup_info 0
		.amdhsa_system_vgpr_workitem_id 0
		.amdhsa_next_free_vgpr 17
		.amdhsa_next_free_sgpr 52
		.amdhsa_reserve_vcc 1
		.amdhsa_reserve_flat_scratch 0
		.amdhsa_float_round_mode_32 0
		.amdhsa_float_round_mode_16_64 0
		.amdhsa_float_denorm_mode_32 3
		.amdhsa_float_denorm_mode_16_64 3
		.amdhsa_dx10_clamp 1
		.amdhsa_ieee_mode 1
		.amdhsa_fp16_overflow 0
		.amdhsa_exception_fp_ieee_invalid_op 0
		.amdhsa_exception_fp_denorm_src 0
		.amdhsa_exception_fp_ieee_div_zero 0
		.amdhsa_exception_fp_ieee_overflow 0
		.amdhsa_exception_fp_ieee_underflow 0
		.amdhsa_exception_fp_ieee_inexact 0
		.amdhsa_exception_int_div_zero 0
	.end_amdhsa_kernel
	.section	.text._ZL13im2col_kernelIfEvPKfPT_lllllllllllliiiiii,"axG",@progbits,_ZL13im2col_kernelIfEvPKfPT_lllllllllllliiiiii,comdat
.Lfunc_end1:
	.size	_ZL13im2col_kernelIfEvPKfPT_lllllllllllliiiiii, .Lfunc_end1-_ZL13im2col_kernelIfEvPKfPT_lllllllllllliiiiii
                                        ; -- End function
	.set _ZL13im2col_kernelIfEvPKfPT_lllllllllllliiiiii.num_vgpr, 17
	.set _ZL13im2col_kernelIfEvPKfPT_lllllllllllliiiiii.num_agpr, 0
	.set _ZL13im2col_kernelIfEvPKfPT_lllllllllllliiiiii.numbered_sgpr, 52
	.set _ZL13im2col_kernelIfEvPKfPT_lllllllllllliiiiii.num_named_barrier, 0
	.set _ZL13im2col_kernelIfEvPKfPT_lllllllllllliiiiii.private_seg_size, 0
	.set _ZL13im2col_kernelIfEvPKfPT_lllllllllllliiiiii.uses_vcc, 1
	.set _ZL13im2col_kernelIfEvPKfPT_lllllllllllliiiiii.uses_flat_scratch, 0
	.set _ZL13im2col_kernelIfEvPKfPT_lllllllllllliiiiii.has_dyn_sized_stack, 0
	.set _ZL13im2col_kernelIfEvPKfPT_lllllllllllliiiiii.has_recursion, 0
	.set _ZL13im2col_kernelIfEvPKfPT_lllllllllllliiiiii.has_indirect_call, 0
	.section	.AMDGPU.csdata,"",@progbits
; Kernel info:
; codeLenInByte = 3072
; TotalNumSgprs: 56
; NumVgprs: 17
; ScratchSize: 0
; MemoryBound: 0
; FloatMode: 240
; IeeeMode: 1
; LDSByteSize: 0 bytes/workgroup (compile time only)
; SGPRBlocks: 6
; VGPRBlocks: 4
; NumSGPRsForWavesPerEU: 56
; NumVGPRsForWavesPerEU: 17
; Occupancy: 10
; WaveLimiterHint : 1
; COMPUTE_PGM_RSRC2:SCRATCH_EN: 0
; COMPUTE_PGM_RSRC2:USER_SGPR: 6
; COMPUTE_PGM_RSRC2:TRAP_HANDLER: 0
; COMPUTE_PGM_RSRC2:TGID_X_EN: 1
; COMPUTE_PGM_RSRC2:TGID_Y_EN: 1
; COMPUTE_PGM_RSRC2:TGID_Z_EN: 1
; COMPUTE_PGM_RSRC2:TIDIG_COMP_CNT: 0
	.section	.text._ZL16im2col_3d_kernelI6__halfEvPKfPT_llllllllllllllllllllllllllllliiiiiiiii,"axG",@progbits,_ZL16im2col_3d_kernelI6__halfEvPKfPT_llllllllllllllllllllllllllllliiiiiiiii,comdat
	.globl	_ZL16im2col_3d_kernelI6__halfEvPKfPT_llllllllllllllllllllllllllllliiiiiiiii ; -- Begin function _ZL16im2col_3d_kernelI6__halfEvPKfPT_llllllllllllllllllllllllllllliiiiiiiii
	.p2align	8
	.type	_ZL16im2col_3d_kernelI6__halfEvPKfPT_llllllllllllllllllllllllllllliiiiiiiii,@function
_ZL16im2col_3d_kernelI6__halfEvPKfPT_llllllllllllllllllllllllllllliiiiiiiii: ; @_ZL16im2col_3d_kernelI6__halfEvPKfPT_llllllllllllllllllllllllllllliiiiiiiii
; %bb.0:
	s_load_dword s0, s[4:5], 0x12c
	s_load_dwordx2 s[34:35], s[4:5], 0xa0
	v_mov_b32_e32 v3, 0
	s_waitcnt lgkmcnt(0)
	s_and_b32 s0, s0, 0xffff
	s_mul_i32 s6, s6, s0
	v_add_u32_e32 v2, s6, v0
	v_cmp_gt_i64_e32 vcc, s[34:35], v[2:3]
	s_and_saveexec_b64 s[0:1], vcc
	s_cbranch_execz .LBB2_39
; %bb.1:
	s_load_dwordx2 s[12:13], s[4:5], 0x78
	s_mov_b32 s0, 0
	s_mov_b32 s10, s7
	s_waitcnt lgkmcnt(0)
	s_mov_b32 s1, s13
	s_cmp_lg_u64 s[0:1], 0
	s_cbranch_scc0 .LBB2_40
; %bb.2:
	s_ashr_i32 s2, s13, 31
	s_add_u32 s0, s12, s2
	s_mov_b32 s3, s2
	s_addc_u32 s1, s13, s2
	s_xor_b64 s[6:7], s[0:1], s[2:3]
	v_cvt_f32_u32_e32 v0, s6
	v_cvt_f32_u32_e32 v1, s7
	s_sub_u32 s3, 0, s6
	s_subb_u32 s9, 0, s7
	v_add_co_u32_e32 v5, vcc, 0, v2
	v_madmk_f32 v0, v1, 0x4f800000, v0
	v_rcp_f32_e32 v0, v0
	v_mul_f32_e32 v0, 0x5f7ffffc, v0
	v_mul_f32_e32 v1, 0x2f800000, v0
	v_trunc_f32_e32 v1, v1
	v_madmk_f32 v0, v1, 0xcf800000, v0
	v_cvt_u32_f32_e32 v1, v1
	v_cvt_u32_f32_e32 v0, v0
	v_readfirstlane_b32 s11, v1
	v_readfirstlane_b32 s0, v0
	s_mul_i32 s1, s3, s11
	s_mul_hi_u32 s15, s3, s0
	s_mul_i32 s14, s9, s0
	s_add_i32 s1, s15, s1
	s_add_i32 s1, s1, s14
	s_mul_i32 s16, s3, s0
	s_mul_i32 s15, s0, s1
	s_mul_hi_u32 s17, s0, s16
	s_mul_hi_u32 s14, s0, s1
	s_add_u32 s15, s17, s15
	s_addc_u32 s14, 0, s14
	s_mul_hi_u32 s18, s11, s16
	s_mul_i32 s16, s11, s16
	s_add_u32 s15, s15, s16
	s_mul_hi_u32 s17, s11, s1
	s_addc_u32 s14, s14, s18
	s_addc_u32 s15, s17, 0
	s_mul_i32 s1, s11, s1
	s_add_u32 s1, s14, s1
	s_addc_u32 s14, 0, s15
	s_add_u32 s15, s0, s1
	s_cselect_b64 s[0:1], -1, 0
	s_cmp_lg_u64 s[0:1], 0
	s_addc_u32 s11, s11, s14
	s_mul_i32 s0, s3, s11
	s_mul_hi_u32 s1, s3, s15
	s_add_i32 s0, s1, s0
	s_mul_i32 s9, s9, s15
	s_add_i32 s0, s0, s9
	s_mul_i32 s3, s3, s15
	s_mul_hi_u32 s9, s11, s3
	s_mul_i32 s14, s11, s3
	s_mul_i32 s17, s15, s0
	s_mul_hi_u32 s3, s15, s3
	s_mul_hi_u32 s16, s15, s0
	s_add_u32 s3, s3, s17
	s_addc_u32 s16, 0, s16
	s_add_u32 s3, s3, s14
	s_mul_hi_u32 s1, s11, s0
	s_addc_u32 s3, s16, s9
	s_addc_u32 s1, s1, 0
	s_mul_i32 s0, s11, s0
	s_add_u32 s0, s3, s0
	s_addc_u32 s3, 0, s1
	s_add_u32 s9, s15, s0
	s_cselect_b64 s[0:1], -1, 0
	s_cmp_lg_u64 s[0:1], 0
	s_addc_u32 s3, s11, s3
	v_mad_u64_u32 v[0:1], s[0:1], v5, s3, 0
	v_mul_hi_u32 v3, v5, s9
	v_addc_co_u32_e64 v6, s[0:1], 0, 0, vcc
	v_add_co_u32_e32 v7, vcc, v3, v0
	v_addc_co_u32_e32 v8, vcc, 0, v1, vcc
	v_mad_u64_u32 v[0:1], s[0:1], v6, s9, 0
	v_mad_u64_u32 v[3:4], s[0:1], v6, s3, 0
	v_add_co_u32_e32 v0, vcc, v7, v0
	v_addc_co_u32_e32 v0, vcc, v8, v1, vcc
	v_addc_co_u32_e32 v1, vcc, 0, v4, vcc
	v_add_co_u32_e32 v3, vcc, v0, v3
	v_addc_co_u32_e32 v4, vcc, 0, v1, vcc
	v_mul_lo_u32 v7, s7, v3
	v_mul_lo_u32 v8, s6, v4
	v_mad_u64_u32 v[0:1], s[0:1], s6, v3, 0
	v_add3_u32 v1, v1, v8, v7
	v_sub_u32_e32 v7, v6, v1
	v_mov_b32_e32 v8, s7
	v_sub_co_u32_e32 v0, vcc, v5, v0
	v_subb_co_u32_e64 v5, s[0:1], v7, v8, vcc
	v_subrev_co_u32_e64 v7, s[0:1], s6, v0
	v_subbrev_co_u32_e64 v5, s[0:1], 0, v5, s[0:1]
	v_cmp_le_u32_e64 s[0:1], s7, v5
	v_cndmask_b32_e64 v8, 0, -1, s[0:1]
	v_cmp_le_u32_e64 s[0:1], s6, v7
	v_cndmask_b32_e64 v7, 0, -1, s[0:1]
	v_cmp_eq_u32_e64 s[0:1], s7, v5
	v_cndmask_b32_e64 v5, v8, v7, s[0:1]
	v_add_co_u32_e64 v7, s[0:1], 2, v3
	v_subb_co_u32_e32 v1, vcc, v6, v1, vcc
	v_addc_co_u32_e64 v8, s[0:1], 0, v4, s[0:1]
	v_cmp_le_u32_e32 vcc, s7, v1
	v_add_co_u32_e64 v9, s[0:1], 1, v3
	v_cndmask_b32_e64 v6, 0, -1, vcc
	v_cmp_le_u32_e32 vcc, s6, v0
	v_addc_co_u32_e64 v10, s[0:1], 0, v4, s[0:1]
	v_cndmask_b32_e64 v0, 0, -1, vcc
	v_cmp_eq_u32_e32 vcc, s7, v1
	v_cmp_ne_u32_e64 s[0:1], 0, v5
	v_cndmask_b32_e32 v0, v6, v0, vcc
	v_cndmask_b32_e64 v5, v10, v8, s[0:1]
	v_cmp_ne_u32_e32 vcc, 0, v0
	v_cndmask_b32_e64 v1, v9, v7, s[0:1]
	v_cndmask_b32_e32 v0, v4, v5, vcc
	v_cndmask_b32_e32 v1, v3, v1, vcc
	v_xor_b32_e32 v3, s2, v0
	v_xor_b32_e32 v0, s2, v1
	v_mov_b32_e32 v1, s2
	v_subrev_co_u32_e32 v0, vcc, s2, v0
	v_subb_co_u32_e32 v1, vcc, v3, v1, vcc
	s_cbranch_execnz .LBB2_4
.LBB2_3:
	v_cvt_f32_u32_e32 v0, s12
	s_sub_i32 s0, 0, s12
	v_rcp_iflag_f32_e32 v0, v0
	v_mul_f32_e32 v0, 0x4f7ffffe, v0
	v_cvt_u32_f32_e32 v0, v0
	v_mul_lo_u32 v1, s0, v0
	v_mul_hi_u32 v1, v0, v1
	v_add_u32_e32 v0, v0, v1
	v_mul_hi_u32 v0, v2, v0
	v_mul_lo_u32 v1, v0, s12
	v_add_u32_e32 v3, 1, v0
	v_sub_u32_e32 v1, v2, v1
	v_subrev_u32_e32 v4, s12, v1
	v_cmp_le_u32_e32 vcc, s12, v1
	v_cndmask_b32_e32 v1, v1, v4, vcc
	v_cndmask_b32_e32 v0, v0, v3, vcc
	v_add_u32_e32 v3, 1, v0
	v_cmp_le_u32_e32 vcc, s12, v1
	v_cndmask_b32_e32 v0, v0, v3, vcc
	v_mov_b32_e32 v1, 0
.LBB2_4:
	s_load_dwordx4 s[28:31], s[4:5], 0x60
	s_mov_b32 s11, 0
	v_mov_b32_e32 v3, s10
	v_mov_b32_e32 v4, s11
	s_waitcnt lgkmcnt(0)
	v_cmp_le_i64_e32 vcc, s[30:31], v[3:4]
	s_cbranch_vccnz .LBB2_39
; %bb.5:
	s_load_dwordx2 s[6:7], s[4:5], 0x50
	s_mov_b32 s0, s11
	s_waitcnt lgkmcnt(0)
	s_mov_b32 s1, s7
	s_cmp_lg_u64 s[0:1], 0
	s_cbranch_scc0 .LBB2_41
; %bb.6:
	s_ashr_i32 s0, s7, 31
	s_add_u32 s2, s6, s0
	s_mov_b32 s1, s0
	s_addc_u32 s3, s7, s0
	s_xor_b64 s[14:15], s[2:3], s[0:1]
	v_cvt_f32_u32_e32 v3, s14
	v_cvt_f32_u32_e32 v4, s15
	s_sub_u32 s2, 0, s14
	s_subb_u32 s3, 0, s15
	v_add_co_u32_e32 v7, vcc, 0, v2
	v_madmk_f32 v3, v4, 0x4f800000, v3
	v_rcp_f32_e32 v3, v3
	v_mul_f32_e32 v3, 0x5f7ffffc, v3
	v_mul_f32_e32 v4, 0x2f800000, v3
	v_trunc_f32_e32 v4, v4
	v_madmk_f32 v3, v4, 0xcf800000, v3
	v_cvt_u32_f32_e32 v4, v4
	v_cvt_u32_f32_e32 v3, v3
	v_readfirstlane_b32 s9, v4
	v_readfirstlane_b32 s0, v3
	s_mul_i32 s1, s2, s9
	s_mul_hi_u32 s17, s2, s0
	s_mul_i32 s16, s3, s0
	s_add_i32 s1, s17, s1
	s_add_i32 s1, s1, s16
	s_mul_i32 s18, s2, s0
	s_mul_i32 s17, s0, s1
	s_mul_hi_u32 s19, s0, s18
	s_mul_hi_u32 s16, s0, s1
	s_add_u32 s17, s19, s17
	s_addc_u32 s16, 0, s16
	s_mul_hi_u32 s20, s9, s18
	s_mul_i32 s18, s9, s18
	s_add_u32 s17, s17, s18
	s_mul_hi_u32 s19, s9, s1
	s_addc_u32 s16, s16, s20
	s_addc_u32 s17, s19, 0
	s_mul_i32 s1, s9, s1
	s_add_u32 s1, s16, s1
	s_addc_u32 s16, 0, s17
	s_add_u32 s17, s0, s1
	s_cselect_b64 s[0:1], -1, 0
	s_cmp_lg_u64 s[0:1], 0
	s_addc_u32 s9, s9, s16
	s_mul_i32 s0, s2, s9
	s_mul_hi_u32 s1, s2, s17
	s_add_i32 s0, s1, s0
	s_mul_i32 s3, s3, s17
	s_add_i32 s0, s0, s3
	s_mul_i32 s2, s2, s17
	s_mul_hi_u32 s3, s9, s2
	s_mul_i32 s16, s9, s2
	s_mul_i32 s19, s17, s0
	s_mul_hi_u32 s2, s17, s2
	s_mul_hi_u32 s18, s17, s0
	s_add_u32 s2, s2, s19
	s_addc_u32 s18, 0, s18
	s_add_u32 s2, s2, s16
	s_mul_hi_u32 s1, s9, s0
	s_addc_u32 s2, s18, s3
	s_addc_u32 s1, s1, 0
	s_mul_i32 s0, s9, s0
	s_add_u32 s0, s2, s0
	s_addc_u32 s2, 0, s1
	s_add_u32 s3, s17, s0
	s_cselect_b64 s[0:1], -1, 0
	s_cmp_lg_u64 s[0:1], 0
	s_addc_u32 s2, s9, s2
	v_mad_u64_u32 v[3:4], s[0:1], v7, s2, 0
	v_mul_hi_u32 v5, v7, s3
	v_addc_co_u32_e64 v8, s[0:1], 0, 0, vcc
	v_add_co_u32_e32 v9, vcc, v5, v3
	v_addc_co_u32_e32 v10, vcc, 0, v4, vcc
	v_mad_u64_u32 v[3:4], s[0:1], v8, s3, 0
	v_mad_u64_u32 v[5:6], s[0:1], v8, s2, 0
	v_add_co_u32_e32 v3, vcc, v9, v3
	v_addc_co_u32_e32 v3, vcc, v10, v4, vcc
	v_addc_co_u32_e32 v4, vcc, 0, v6, vcc
	v_add_co_u32_e32 v3, vcc, v3, v5
	v_addc_co_u32_e32 v4, vcc, 0, v4, vcc
	v_mul_lo_u32 v5, s15, v3
	v_mul_lo_u32 v6, s14, v4
	v_mad_u64_u32 v[3:4], s[0:1], s14, v3, 0
	v_add3_u32 v4, v4, v6, v5
	v_sub_u32_e32 v5, v8, v4
	v_mov_b32_e32 v6, s15
	v_sub_co_u32_e32 v3, vcc, v7, v3
	v_subb_co_u32_e64 v5, s[0:1], v5, v6, vcc
	v_subrev_co_u32_e64 v7, s[0:1], s14, v3
	v_subbrev_co_u32_e64 v9, s[2:3], 0, v5, s[0:1]
	v_cmp_le_u32_e64 s[2:3], s15, v9
	v_cndmask_b32_e64 v10, 0, -1, s[2:3]
	v_cmp_le_u32_e64 s[2:3], s14, v7
	v_subb_co_u32_e64 v5, s[0:1], v5, v6, s[0:1]
	v_cndmask_b32_e64 v11, 0, -1, s[2:3]
	v_cmp_eq_u32_e64 s[2:3], s15, v9
	v_subrev_co_u32_e64 v6, s[0:1], s14, v7
	v_subb_co_u32_e32 v4, vcc, v8, v4, vcc
	v_cndmask_b32_e64 v10, v10, v11, s[2:3]
	v_subbrev_co_u32_e64 v5, s[0:1], 0, v5, s[0:1]
	v_cmp_le_u32_e32 vcc, s15, v4
	v_cmp_ne_u32_e64 s[0:1], 0, v10
	v_cndmask_b32_e64 v8, 0, -1, vcc
	v_cmp_le_u32_e32 vcc, s14, v3
	v_cndmask_b32_e64 v5, v9, v5, s[0:1]
	v_cndmask_b32_e64 v9, 0, -1, vcc
	v_cmp_eq_u32_e32 vcc, s15, v4
	v_cndmask_b32_e32 v8, v8, v9, vcc
	v_cmp_ne_u32_e32 vcc, 0, v8
	v_cndmask_b32_e32 v4, v4, v5, vcc
	v_cndmask_b32_e64 v5, v7, v6, s[0:1]
	v_cndmask_b32_e32 v3, v3, v5, vcc
	v_subrev_co_u32_e32 v8, vcc, 0, v3
	v_subbrev_co_u32_e32 v9, vcc, 0, v4, vcc
	v_cvt_f32_u32_e32 v3, s6
	s_cbranch_execnz .LBB2_8
.LBB2_7:
	v_rcp_iflag_f32_e32 v4, v3
	s_sub_i32 s0, 0, s6
	v_mov_b32_e32 v9, 0
	v_mul_f32_e32 v4, 0x4f7ffffe, v4
	v_cvt_u32_f32_e32 v4, v4
	v_mul_lo_u32 v5, s0, v4
	v_mul_hi_u32 v5, v4, v5
	v_add_u32_e32 v4, v4, v5
	v_mul_hi_u32 v4, v2, v4
	v_mul_lo_u32 v4, v4, s6
	v_sub_u32_e32 v4, v2, v4
	v_subrev_u32_e32 v5, s6, v4
	v_cmp_le_u32_e32 vcc, s6, v4
	v_cndmask_b32_e32 v4, v4, v5, vcc
	v_subrev_u32_e32 v5, s6, v4
	v_cmp_le_u32_e32 vcc, s6, v4
	v_cndmask_b32_e32 v8, v4, v5, vcc
.LBB2_8:
	v_mul_lo_u32 v4, v1, s12
	v_mul_lo_u32 v5, v0, s13
	v_mad_u64_u32 v[6:7], s[0:1], v0, s12, 0
	s_load_dwordx2 s[2:3], s[4:5], 0x88
	v_add3_u32 v7, v7, v5, v4
	v_sub_co_u32_e32 v2, vcc, v2, v6
	v_subb_co_u32_e32 v12, vcc, 0, v7, vcc
	s_waitcnt lgkmcnt(0)
	v_or_b32_e32 v5, s3, v12
	v_mov_b32_e32 v4, 0
	v_cmp_ne_u64_e32 vcc, 0, v[4:5]
                                        ; implicit-def: $vgpr4_vgpr5
	s_and_saveexec_b64 s[0:1], vcc
	s_xor_b64 s[12:13], exec, s[0:1]
	s_cbranch_execz .LBB2_10
; %bb.9:
	s_ashr_i32 s14, s3, 31
	s_add_u32 s0, s2, s14
	s_mov_b32 s15, s14
	s_addc_u32 s1, s3, s14
	s_xor_b64 s[16:17], s[0:1], s[14:15]
	v_cvt_f32_u32_e32 v4, s16
	v_cvt_f32_u32_e32 v5, s17
	s_sub_u32 s9, 0, s16
	s_subb_u32 s15, 0, s17
	v_ashrrev_i32_e32 v13, 31, v12
	v_madmk_f32 v4, v5, 0x4f800000, v4
	v_rcp_f32_e32 v4, v4
	v_mul_f32_e32 v4, 0x5f7ffffc, v4
	v_mul_f32_e32 v5, 0x2f800000, v4
	v_trunc_f32_e32 v5, v5
	v_madmk_f32 v4, v5, 0xcf800000, v4
	v_cvt_u32_f32_e32 v5, v5
	v_cvt_u32_f32_e32 v4, v4
	v_readfirstlane_b32 s18, v5
	v_readfirstlane_b32 s0, v4
	s_mul_i32 s1, s9, s18
	s_mul_hi_u32 s20, s9, s0
	s_mul_i32 s19, s15, s0
	s_add_i32 s1, s20, s1
	s_add_i32 s1, s1, s19
	s_mul_i32 s21, s9, s0
	s_mul_i32 s20, s0, s1
	s_mul_hi_u32 s22, s0, s21
	s_mul_hi_u32 s19, s0, s1
	s_add_u32 s20, s22, s20
	s_addc_u32 s19, 0, s19
	s_mul_hi_u32 s23, s18, s21
	s_mul_i32 s21, s18, s21
	s_add_u32 s20, s20, s21
	s_mul_hi_u32 s22, s18, s1
	s_addc_u32 s19, s19, s23
	s_addc_u32 s20, s22, 0
	s_mul_i32 s1, s18, s1
	s_add_u32 s1, s19, s1
	s_addc_u32 s19, 0, s20
	s_add_u32 s20, s0, s1
	s_cselect_b64 s[0:1], -1, 0
	s_cmp_lg_u64 s[0:1], 0
	s_addc_u32 s18, s18, s19
	s_mul_i32 s0, s9, s18
	s_mul_hi_u32 s1, s9, s20
	s_add_i32 s0, s1, s0
	s_mul_i32 s15, s15, s20
	s_add_i32 s0, s0, s15
	s_mul_i32 s9, s9, s20
	s_mul_hi_u32 s15, s18, s9
	s_mul_i32 s19, s18, s9
	s_mul_i32 s22, s20, s0
	s_mul_hi_u32 s9, s20, s9
	s_mul_hi_u32 s21, s20, s0
	s_add_u32 s9, s9, s22
	s_addc_u32 s21, 0, s21
	s_add_u32 s9, s9, s19
	s_mul_hi_u32 s1, s18, s0
	s_addc_u32 s9, s21, s15
	s_addc_u32 s1, s1, 0
	s_mul_i32 s0, s18, s0
	s_add_u32 s0, s9, s0
	s_addc_u32 s9, 0, s1
	s_add_u32 s15, s20, s0
	s_cselect_b64 s[0:1], -1, 0
	s_cmp_lg_u64 s[0:1], 0
	v_add_co_u32_e32 v4, vcc, v2, v13
	s_addc_u32 s9, s18, s9
	v_xor_b32_e32 v14, v4, v13
	v_mad_u64_u32 v[4:5], s[0:1], v14, s9, 0
	v_mul_hi_u32 v11, v14, s15
	v_addc_co_u32_e32 v10, vcc, v12, v13, vcc
	v_xor_b32_e32 v15, v10, v13
	v_add_co_u32_e32 v16, vcc, v11, v4
	v_addc_co_u32_e32 v17, vcc, 0, v5, vcc
	v_mad_u64_u32 v[4:5], s[0:1], v15, s15, 0
	v_mad_u64_u32 v[10:11], s[0:1], v15, s9, 0
	v_add_co_u32_e32 v4, vcc, v16, v4
	v_addc_co_u32_e32 v4, vcc, v17, v5, vcc
	v_addc_co_u32_e32 v5, vcc, 0, v11, vcc
	v_add_co_u32_e32 v10, vcc, v4, v10
	v_addc_co_u32_e32 v11, vcc, 0, v5, vcc
	v_mul_lo_u32 v16, s17, v10
	v_mul_lo_u32 v17, s16, v11
	v_mad_u64_u32 v[4:5], s[0:1], s16, v10, 0
	v_add3_u32 v5, v5, v17, v16
	v_sub_u32_e32 v16, v15, v5
	v_mov_b32_e32 v17, s17
	v_sub_co_u32_e32 v4, vcc, v14, v4
	v_subb_co_u32_e64 v14, s[0:1], v16, v17, vcc
	v_subrev_co_u32_e64 v16, s[0:1], s16, v4
	v_subbrev_co_u32_e64 v14, s[0:1], 0, v14, s[0:1]
	v_cmp_le_u32_e64 s[0:1], s17, v14
	v_cndmask_b32_e64 v17, 0, -1, s[0:1]
	v_cmp_le_u32_e64 s[0:1], s16, v16
	v_cndmask_b32_e64 v16, 0, -1, s[0:1]
	v_cmp_eq_u32_e64 s[0:1], s17, v14
	v_cndmask_b32_e64 v14, v17, v16, s[0:1]
	v_add_co_u32_e64 v16, s[0:1], 2, v10
	v_subb_co_u32_e32 v5, vcc, v15, v5, vcc
	v_addc_co_u32_e64 v17, s[0:1], 0, v11, s[0:1]
	v_cmp_le_u32_e32 vcc, s17, v5
	v_add_co_u32_e64 v18, s[0:1], 1, v10
	v_cndmask_b32_e64 v15, 0, -1, vcc
	v_cmp_le_u32_e32 vcc, s16, v4
	v_addc_co_u32_e64 v19, s[0:1], 0, v11, s[0:1]
	v_cndmask_b32_e64 v4, 0, -1, vcc
	v_cmp_eq_u32_e32 vcc, s17, v5
	v_cmp_ne_u32_e64 s[0:1], 0, v14
	v_cndmask_b32_e32 v4, v15, v4, vcc
	v_cndmask_b32_e64 v14, v19, v17, s[0:1]
	v_cmp_ne_u32_e32 vcc, 0, v4
	v_cndmask_b32_e64 v5, v18, v16, s[0:1]
	v_cndmask_b32_e32 v4, v11, v14, vcc
	v_cndmask_b32_e32 v5, v10, v5, vcc
	v_xor_b32_e32 v10, s14, v13
	v_xor_b32_e32 v11, v4, v10
	;; [unrolled: 1-line block ×3, first 2 shown]
	v_sub_co_u32_e32 v4, vcc, v4, v10
	v_subb_co_u32_e32 v5, vcc, v11, v10, vcc
.LBB2_10:
	s_andn2_saveexec_b64 s[0:1], s[12:13]
	s_cbranch_execz .LBB2_12
; %bb.11:
	v_cvt_f32_u32_e32 v4, s2
	s_sub_i32 s9, 0, s2
	v_rcp_iflag_f32_e32 v4, v4
	v_mul_f32_e32 v4, 0x4f7ffffe, v4
	v_cvt_u32_f32_e32 v4, v4
	v_mul_lo_u32 v5, s9, v4
	v_mul_hi_u32 v5, v4, v5
	v_add_u32_e32 v4, v4, v5
	v_mul_hi_u32 v4, v2, v4
	v_mul_lo_u32 v5, v4, s2
	v_add_u32_e32 v10, 1, v4
	v_sub_u32_e32 v5, v2, v5
	v_subrev_u32_e32 v11, s2, v5
	v_cmp_le_u32_e32 vcc, s2, v5
	v_cndmask_b32_e32 v5, v5, v11, vcc
	v_cndmask_b32_e32 v4, v4, v10, vcc
	v_add_u32_e32 v10, 1, v4
	v_cmp_le_u32_e32 vcc, s2, v5
	v_cndmask_b32_e32 v4, v4, v10, vcc
	v_mov_b32_e32 v5, 0
.LBB2_12:
	s_or_b64 exec, exec, s[0:1]
	v_mul_lo_u32 v13, v5, s2
	v_mul_lo_u32 v14, v4, s3
	v_mad_u64_u32 v[10:11], s[0:1], v4, s2, 0
	v_add3_u32 v11, v11, v14, v13
	v_sub_co_u32_e32 v2, vcc, v2, v10
	v_subb_co_u32_e32 v14, vcc, v12, v11, vcc
	v_or_b32_e32 v13, s7, v14
	v_mov_b32_e32 v12, 0
	v_cmp_ne_u64_e32 vcc, 0, v[12:13]
                                        ; implicit-def: $vgpr12_vgpr13
	s_and_saveexec_b64 s[0:1], vcc
	s_xor_b64 s[2:3], exec, s[0:1]
	s_cbranch_execz .LBB2_14
; %bb.13:
	s_ashr_i32 s12, s7, 31
	s_add_u32 s0, s6, s12
	s_mov_b32 s13, s12
	s_addc_u32 s1, s7, s12
	s_xor_b64 s[14:15], s[0:1], s[12:13]
	v_cvt_f32_u32_e32 v3, s14
	v_cvt_f32_u32_e32 v12, s15
	s_sub_u32 s9, 0, s14
	s_subb_u32 s13, 0, s15
	v_ashrrev_i32_e32 v15, 31, v14
	v_madmk_f32 v3, v12, 0x4f800000, v3
	v_rcp_f32_e32 v3, v3
	v_add_co_u32_e32 v2, vcc, v2, v15
	v_mul_f32_e32 v3, 0x5f7ffffc, v3
	v_mul_f32_e32 v12, 0x2f800000, v3
	v_trunc_f32_e32 v12, v12
	v_madmk_f32 v3, v12, 0xcf800000, v3
	v_cvt_u32_f32_e32 v12, v12
	v_cvt_u32_f32_e32 v3, v3
	v_readfirstlane_b32 s16, v12
	v_readfirstlane_b32 s0, v3
	s_mul_i32 s1, s9, s16
	s_mul_hi_u32 s18, s9, s0
	s_mul_i32 s17, s13, s0
	s_add_i32 s1, s18, s1
	s_add_i32 s1, s1, s17
	s_mul_i32 s19, s9, s0
	s_mul_i32 s18, s0, s1
	s_mul_hi_u32 s20, s0, s19
	s_mul_hi_u32 s17, s0, s1
	s_add_u32 s18, s20, s18
	s_addc_u32 s17, 0, s17
	s_mul_hi_u32 s21, s16, s19
	s_mul_i32 s19, s16, s19
	s_add_u32 s18, s18, s19
	s_mul_hi_u32 s20, s16, s1
	s_addc_u32 s17, s17, s21
	s_addc_u32 s18, s20, 0
	s_mul_i32 s1, s16, s1
	s_add_u32 s1, s17, s1
	s_addc_u32 s17, 0, s18
	s_add_u32 s18, s0, s1
	s_cselect_b64 s[0:1], -1, 0
	s_cmp_lg_u64 s[0:1], 0
	s_addc_u32 s16, s16, s17
	s_mul_i32 s0, s9, s16
	s_mul_hi_u32 s1, s9, s18
	s_add_i32 s0, s1, s0
	s_mul_i32 s13, s13, s18
	s_add_i32 s0, s0, s13
	s_mul_i32 s9, s9, s18
	s_mul_hi_u32 s13, s16, s9
	s_mul_i32 s17, s16, s9
	s_mul_i32 s20, s18, s0
	s_mul_hi_u32 s9, s18, s9
	s_mul_hi_u32 s19, s18, s0
	s_add_u32 s9, s9, s20
	s_addc_u32 s19, 0, s19
	s_add_u32 s9, s9, s17
	s_mul_hi_u32 s1, s16, s0
	s_addc_u32 s9, s19, s13
	s_addc_u32 s1, s1, 0
	s_mul_i32 s0, s16, s0
	s_add_u32 s0, s9, s0
	s_addc_u32 s9, 0, s1
	s_add_u32 s13, s18, s0
	s_cselect_b64 s[0:1], -1, 0
	s_cmp_lg_u64 s[0:1], 0
	s_addc_u32 s9, s16, s9
	v_addc_co_u32_e32 v12, vcc, v14, v15, vcc
	v_xor_b32_e32 v14, v2, v15
	v_mad_u64_u32 v[2:3], s[0:1], v14, s9, 0
	v_mul_hi_u32 v13, v14, s13
	v_xor_b32_e32 v16, v12, v15
	v_add_co_u32_e32 v17, vcc, v13, v2
	v_addc_co_u32_e32 v18, vcc, 0, v3, vcc
	v_mad_u64_u32 v[2:3], s[0:1], v16, s13, 0
	v_mad_u64_u32 v[12:13], s[0:1], v16, s9, 0
	v_add_co_u32_e32 v2, vcc, v17, v2
	v_addc_co_u32_e32 v2, vcc, v18, v3, vcc
	v_addc_co_u32_e32 v3, vcc, 0, v13, vcc
	v_add_co_u32_e32 v12, vcc, v2, v12
	v_addc_co_u32_e32 v13, vcc, 0, v3, vcc
	v_mul_lo_u32 v17, s15, v12
	v_mul_lo_u32 v18, s14, v13
	v_mad_u64_u32 v[2:3], s[0:1], s14, v12, 0
	v_add3_u32 v3, v3, v18, v17
	v_sub_u32_e32 v17, v16, v3
	v_mov_b32_e32 v18, s15
	v_sub_co_u32_e32 v2, vcc, v14, v2
	v_subb_co_u32_e64 v14, s[0:1], v17, v18, vcc
	v_subrev_co_u32_e64 v17, s[0:1], s14, v2
	v_subbrev_co_u32_e64 v14, s[0:1], 0, v14, s[0:1]
	v_cmp_le_u32_e64 s[0:1], s15, v14
	v_cndmask_b32_e64 v18, 0, -1, s[0:1]
	v_cmp_le_u32_e64 s[0:1], s14, v17
	v_cndmask_b32_e64 v17, 0, -1, s[0:1]
	v_cmp_eq_u32_e64 s[0:1], s15, v14
	v_cndmask_b32_e64 v14, v18, v17, s[0:1]
	v_add_co_u32_e64 v17, s[0:1], 2, v12
	v_subb_co_u32_e32 v3, vcc, v16, v3, vcc
	v_addc_co_u32_e64 v18, s[0:1], 0, v13, s[0:1]
	v_cmp_le_u32_e32 vcc, s15, v3
	v_add_co_u32_e64 v19, s[0:1], 1, v12
	v_cndmask_b32_e64 v16, 0, -1, vcc
	v_cmp_le_u32_e32 vcc, s14, v2
	v_addc_co_u32_e64 v20, s[0:1], 0, v13, s[0:1]
	v_cndmask_b32_e64 v2, 0, -1, vcc
	v_cmp_eq_u32_e32 vcc, s15, v3
	v_cmp_ne_u32_e64 s[0:1], 0, v14
	v_cndmask_b32_e32 v2, v16, v2, vcc
	v_cndmask_b32_e64 v14, v20, v18, s[0:1]
	v_cmp_ne_u32_e32 vcc, 0, v2
	v_cndmask_b32_e64 v3, v19, v17, s[0:1]
	v_cndmask_b32_e32 v2, v13, v14, vcc
	v_cndmask_b32_e32 v3, v12, v3, vcc
	v_xor_b32_e32 v13, s12, v15
	v_xor_b32_e32 v3, v3, v13
	;; [unrolled: 1-line block ×3, first 2 shown]
	v_sub_co_u32_e32 v12, vcc, v3, v13
	v_subb_co_u32_e32 v13, vcc, v2, v13, vcc
                                        ; implicit-def: $vgpr3
                                        ; implicit-def: $vgpr2
.LBB2_14:
	s_andn2_saveexec_b64 s[0:1], s[2:3]
	s_cbranch_execz .LBB2_16
; %bb.15:
	v_rcp_iflag_f32_e32 v3, v3
	s_sub_i32 s2, 0, s6
	v_mul_f32_e32 v3, 0x4f7ffffe, v3
	v_cvt_u32_f32_e32 v3, v3
	v_mul_lo_u32 v12, s2, v3
	v_mul_hi_u32 v12, v3, v12
	v_add_u32_e32 v3, v3, v12
	v_mul_hi_u32 v3, v2, v3
	v_mul_lo_u32 v12, v3, s6
	v_add_u32_e32 v13, 1, v3
	v_sub_u32_e32 v2, v2, v12
	v_subrev_u32_e32 v12, s6, v2
	v_cmp_le_u32_e32 vcc, s6, v2
	v_cndmask_b32_e32 v2, v2, v12, vcc
	v_cndmask_b32_e32 v3, v3, v13, vcc
	v_add_u32_e32 v12, 1, v3
	v_cmp_le_u32_e32 vcc, s6, v2
	v_cndmask_b32_e32 v12, v3, v12, vcc
	v_mov_b32_e32 v13, 0
.LBB2_16:
	s_or_b64 exec, exec, s[0:1]
	s_load_dwordx4 s[52:55], s[4:5], 0x0
	s_load_dwordx8 s[36:43], s[4:5], 0x18
	s_load_dwordx16 s[12:27], s[4:5], 0xb0
	s_load_dwordx8 s[44:51], s[4:5], 0xf8
	s_load_dwordx2 s[56:57], s[4:5], 0xf0
	s_load_dword s2, s[4:5], 0x118
	s_mov_b32 s58, 0
	s_mov_b32 s9, s58
	s_waitcnt lgkmcnt(0)
	s_ashr_i32 s0, s50, 31
	v_mul_lo_u32 v16, v9, s50
	v_mul_lo_u32 v17, v8, s0
	v_mad_u64_u32 v[2:3], s[0:1], v8, s50, 0
	s_ashr_i32 s0, s47, 31
	v_mov_b32_e32 v18, s0
	s_ashr_i32 s0, s51, 31
	v_add3_u32 v3, v3, v17, v16
	v_mul_lo_u32 v19, v13, s51
	v_mul_lo_u32 v20, v12, s0
	v_mad_u64_u32 v[16:17], s[0:1], v12, s51, 0
	v_subrev_co_u32_e32 v2, vcc, s47, v2
	s_ashr_i32 s0, s48, 31
	v_subb_co_u32_e32 v3, vcc, v3, v18, vcc
	v_add3_u32 v19, v17, v20, v19
	v_mov_b32_e32 v20, s0
	s_ashr_i32 s0, s2, 31
	v_mul_lo_u32 v21, v5, s2
	v_mul_lo_u32 v22, v4, s0
	v_mad_u64_u32 v[17:18], s[0:1], v4, s2, 0
	v_subrev_co_u32_e32 v4, vcc, s48, v16
	v_subb_co_u32_e32 v5, vcc, v19, v20, vcc
	v_add_co_u32_e32 v6, vcc, v10, v6
	s_ashr_i32 s0, s49, 31
	v_addc_co_u32_e32 v7, vcc, v11, v7, vcc
	v_add3_u32 v16, v18, v22, v21
	v_mov_b32_e32 v18, s0
	v_mul_lo_u32 v19, v12, s7
	v_mul_lo_u32 v13, v13, s6
	v_mad_u64_u32 v[10:11], s[0:1], v12, s6, v[6:7]
	v_mov_b32_e32 v15, s9
	v_subrev_co_u32_e32 v6, vcc, s49, v17
	v_mov_b32_e32 v14, s8
	s_ashr_i32 s33, s44, 31
	s_ashr_i32 s47, s45, 31
	;; [unrolled: 1-line block ×3, first 2 shown]
	v_subb_co_u32_e32 v7, vcc, v16, v18, vcc
	v_add3_u32 v11, v13, v11, v19
	v_add_co_u32_e32 v8, vcc, v10, v8
	s_sub_u32 s67, 0, s20
	v_cmp_gt_i64_e64 s[0:1], s[18:19], v[14:15]
	s_mov_b32 s64, s44
	s_mov_b32 s65, s45
	v_addc_co_u32_e32 v9, vcc, v11, v9, vcc
	s_subb_u32 s68, 0, s21
	v_mov_b32_e32 v20, 0
	s_branch .LBB2_18
.LBB2_17:                               ;   in Loop: Header=BB2_18 Depth=1
	s_add_u32 s10, s10, 0xffff
	v_mov_b32_e32 v10, s30
	s_addc_u32 s11, s11, 0
	v_mov_b32_e32 v11, s31
	v_cmp_ge_i64_e32 vcc, s[10:11], v[10:11]
	s_cbranch_vccnz .LBB2_39
.LBB2_18:                               ; =>This Loop Header: Depth=1
                                        ;     Child Loop BB2_21 Depth 2
	s_andn2_b64 vcc, exec, s[0:1]
	s_cbranch_vccnz .LBB2_17
; %bb.19:                               ;   in Loop: Header=BB2_18 Depth=1
	v_mov_b32_e32 v10, s64
	v_mad_u64_u32 v[12:13], s[2:3], s10, v10, v[2:3]
	s_mul_i32 s2, s11, s64
	s_mul_i32 s3, s10, s33
	s_add_i32 s3, s3, s2
	v_add_u32_e32 v13, s3, v13
	s_mul_i32 s2, s11, s34
	s_mul_i32 s3, s10, s35
	s_add_i32 s4, s3, s2
	v_mov_b32_e32 v10, s34
	v_mul_lo_u32 v16, v13, s56
	v_mul_lo_u32 v17, v12, s57
	v_mad_u64_u32 v[14:15], s[2:3], v12, s56, 0
	v_mad_u64_u32 v[10:11], s[2:3], s10, v10, v[8:9]
	v_add3_u32 v15, v15, v17, v16
	v_cmp_gt_i64_e64 s[2:3], 0, v[12:13]
	v_add_u32_e32 v11, s4, v11
	v_cmp_gt_i64_e64 s[4:5], s[42:43], v[12:13]
	v_lshlrev_b64 v[12:13], 2, v[14:15]
	s_mov_b64 s[44:45], s[8:9]
	s_branch .LBB2_21
.LBB2_20:                               ;   in Loop: Header=BB2_21 Depth=2
	s_or_b64 exec, exec, s[6:7]
	s_add_u32 s44, s44, 0xffff
	v_mov_b32_e32 v14, s18
	s_addc_u32 s45, s45, 0
	v_mov_b32_e32 v15, s19
	v_cmp_ge_i64_e32 vcc, s[44:45], v[14:15]
	s_cbranch_vccnz .LBB2_17
.LBB2_21:                               ;   Parent Loop BB2_18 Depth=1
                                        ; =>  This Inner Loop Header: Depth=2
	s_or_b64 s[6:7], s[44:45], s[20:21]
	s_mov_b32 s59, s7
	s_cmp_lg_u64 s[58:59], 0
	s_cbranch_scc0 .LBB2_36
; %bb.22:                               ;   in Loop: Header=BB2_21 Depth=2
	s_ashr_i32 s6, s21, 31
	s_add_u32 s48, s20, s6
	s_mov_b32 s7, s6
	s_addc_u32 s49, s21, s6
	s_xor_b64 s[48:49], s[48:49], s[6:7]
	v_cvt_f32_u32_e32 v14, s48
	v_cvt_f32_u32_e32 v15, s49
	s_sub_u32 s59, 0, s48
	s_subb_u32 s60, 0, s49
	v_mac_f32_e32 v14, 0x4f800000, v15
	v_rcp_f32_e32 v14, v14
	v_mul_f32_e32 v14, 0x5f7ffffc, v14
	v_mul_f32_e32 v15, 0x2f800000, v14
	v_trunc_f32_e32 v15, v15
	v_mac_f32_e32 v14, 0xcf800000, v15
	v_cvt_u32_f32_e32 v15, v15
	v_cvt_u32_f32_e32 v14, v14
	v_readfirstlane_b32 s61, v15
	v_readfirstlane_b32 s50, v14
	s_mul_i32 s51, s59, s61
	s_mul_hi_u32 s63, s59, s50
	s_mul_i32 s62, s60, s50
	s_add_i32 s51, s63, s51
	s_add_i32 s51, s51, s62
	s_mul_i32 s69, s59, s50
	s_mul_i32 s63, s50, s51
	s_mul_hi_u32 s70, s50, s69
	s_mul_hi_u32 s62, s50, s51
	s_add_u32 s63, s70, s63
	s_addc_u32 s62, 0, s62
	s_mul_hi_u32 s71, s61, s69
	s_mul_i32 s69, s61, s69
	s_add_u32 s63, s63, s69
	s_mul_hi_u32 s70, s61, s51
	s_addc_u32 s62, s62, s71
	s_addc_u32 s63, s70, 0
	s_mul_i32 s51, s61, s51
	s_add_u32 s51, s62, s51
	s_addc_u32 s62, 0, s63
	s_add_u32 s63, s50, s51
	s_cselect_b64 s[50:51], -1, 0
	s_cmp_lg_u64 s[50:51], 0
	s_addc_u32 s61, s61, s62
	s_mul_i32 s50, s59, s61
	s_mul_hi_u32 s51, s59, s63
	s_add_i32 s50, s51, s50
	s_mul_i32 s60, s60, s63
	s_add_i32 s50, s50, s60
	s_mul_i32 s59, s59, s63
	s_mul_hi_u32 s60, s61, s59
	s_mul_i32 s62, s61, s59
	s_mul_i32 s70, s63, s50
	s_mul_hi_u32 s59, s63, s59
	s_mul_hi_u32 s69, s63, s50
	s_add_u32 s59, s59, s70
	s_addc_u32 s69, 0, s69
	s_add_u32 s59, s59, s62
	s_mul_hi_u32 s51, s61, s50
	s_addc_u32 s59, s69, s60
	s_addc_u32 s51, s51, 0
	s_mul_i32 s50, s61, s50
	s_add_u32 s50, s59, s50
	s_addc_u32 s59, 0, s51
	s_add_u32 s62, s63, s50
	s_cselect_b64 s[50:51], -1, 0
	s_cmp_lg_u64 s[50:51], 0
	s_addc_u32 s59, s61, s59
	s_ashr_i32 s50, s45, 31
	s_add_u32 s60, s44, s50
	s_mov_b32 s51, s50
	s_addc_u32 s61, s45, s50
	s_xor_b64 s[60:61], s[60:61], s[50:51]
	s_mul_i32 s69, s60, s59
	s_mul_hi_u32 s70, s60, s62
	s_mul_hi_u32 s63, s60, s59
	s_add_u32 s69, s70, s69
	s_addc_u32 s63, 0, s63
	s_mul_hi_u32 s71, s61, s62
	s_mul_i32 s62, s61, s62
	s_add_u32 s62, s69, s62
	s_mul_hi_u32 s70, s61, s59
	s_addc_u32 s62, s63, s71
	s_addc_u32 s63, s70, 0
	s_mul_i32 s59, s61, s59
	s_add_u32 s59, s62, s59
	s_addc_u32 s69, 0, s63
	s_mul_i32 s62, s48, s69
	s_mul_hi_u32 s63, s48, s59
	s_add_i32 s62, s63, s62
	s_mul_i32 s63, s49, s59
	s_add_i32 s72, s62, s63
	s_sub_i32 s70, s61, s72
	s_mul_i32 s62, s48, s59
	s_sub_u32 s60, s60, s62
	s_cselect_b64 s[62:63], -1, 0
	s_cmp_lg_u64 s[62:63], 0
	s_subb_u32 s73, s70, s49
	s_sub_u32 s74, s60, s48
	s_cselect_b64 s[70:71], -1, 0
	s_cmp_lg_u64 s[70:71], 0
	s_subb_u32 s70, s73, 0
	s_cmp_ge_u32 s70, s49
	s_cselect_b32 s71, -1, 0
	s_cmp_ge_u32 s74, s48
	s_cselect_b32 s73, -1, 0
	s_cmp_eq_u32 s70, s49
	s_cselect_b32 s70, s73, s71
	s_add_u32 s71, s59, 1
	s_addc_u32 s73, s69, 0
	s_add_u32 s74, s59, 2
	s_addc_u32 s75, s69, 0
	s_cmp_lg_u32 s70, 0
	s_cselect_b32 s70, s74, s71
	s_cselect_b32 s71, s75, s73
	s_cmp_lg_u64 s[62:63], 0
	s_subb_u32 s61, s61, s72
	s_cmp_ge_u32 s61, s49
	s_cselect_b32 s62, -1, 0
	s_cmp_ge_u32 s60, s48
	s_cselect_b32 s48, -1, 0
	s_cmp_eq_u32 s61, s49
	s_cselect_b32 s48, s48, s62
	s_cmp_lg_u32 s48, 0
	s_cselect_b32 s49, s71, s69
	s_cselect_b32 s48, s70, s59
	s_xor_b64 s[6:7], s[50:51], s[6:7]
	s_xor_b64 s[48:49], s[48:49], s[6:7]
	s_sub_u32 s48, s48, s6
	s_subb_u32 s49, s49, s7
	s_cbranch_execnz .LBB2_24
.LBB2_23:                               ;   in Loop: Header=BB2_21 Depth=2
	v_cvt_f32_u32_e32 v14, s20
	s_sub_i32 s6, 0, s20
	v_rcp_iflag_f32_e32 v14, v14
	v_mul_f32_e32 v14, 0x4f7ffffe, v14
	v_cvt_u32_f32_e32 v14, v14
	v_readfirstlane_b32 s7, v14
	s_mul_i32 s6, s6, s7
	s_mul_hi_u32 s6, s7, s6
	s_add_i32 s7, s7, s6
	s_mul_hi_u32 s6, s44, s7
	s_mul_i32 s48, s6, s20
	s_sub_i32 s48, s44, s48
	s_add_i32 s7, s6, 1
	s_sub_i32 s49, s48, s20
	s_cmp_ge_u32 s48, s20
	s_cselect_b32 s6, s7, s6
	s_cselect_b32 s48, s49, s48
	s_add_i32 s7, s6, 1
	s_cmp_ge_u32 s48, s20
	s_cselect_b32 s48, s7, s6
	s_mov_b32 s49, s58
.LBB2_24:                               ;   in Loop: Header=BB2_21 Depth=2
	s_mul_i32 s6, s67, s49
	s_mul_hi_u32 s7, s67, s48
	s_add_i32 s6, s7, s6
	s_mul_i32 s7, s68, s48
	s_add_i32 s7, s6, s7
	s_mul_i32 s6, s67, s48
	s_add_u32 s6, s44, s6
	s_addc_u32 s7, s45, s7
	s_or_b64 s[50:51], s[6:7], s[28:29]
	s_mov_b32 s59, s51
	s_cmp_lg_u64 s[58:59], 0
	s_cbranch_scc0 .LBB2_37
; %bb.25:                               ;   in Loop: Header=BB2_21 Depth=2
	s_ashr_i32 s50, s29, 31
	s_add_u32 s60, s28, s50
	s_mov_b32 s51, s50
	s_addc_u32 s61, s29, s50
	s_xor_b64 s[60:61], s[60:61], s[50:51]
	v_cvt_f32_u32_e32 v14, s60
	v_cvt_f32_u32_e32 v15, s61
	s_sub_u32 s59, 0, s60
	s_subb_u32 s69, 0, s61
	v_mac_f32_e32 v14, 0x4f800000, v15
	v_rcp_f32_e32 v14, v14
	v_mul_f32_e32 v14, 0x5f7ffffc, v14
	v_mul_f32_e32 v15, 0x2f800000, v14
	v_trunc_f32_e32 v15, v15
	v_mac_f32_e32 v14, 0xcf800000, v15
	v_cvt_u32_f32_e32 v15, v15
	v_cvt_u32_f32_e32 v14, v14
	v_readfirstlane_b32 s70, v15
	v_readfirstlane_b32 s62, v14
	s_mul_i32 s63, s59, s70
	s_mul_hi_u32 s72, s59, s62
	s_mul_i32 s71, s69, s62
	s_add_i32 s63, s72, s63
	s_add_i32 s63, s63, s71
	s_mul_i32 s73, s59, s62
	s_mul_i32 s72, s62, s63
	s_mul_hi_u32 s74, s62, s73
	s_mul_hi_u32 s71, s62, s63
	s_add_u32 s72, s74, s72
	s_addc_u32 s71, 0, s71
	s_mul_hi_u32 s75, s70, s73
	s_mul_i32 s73, s70, s73
	s_add_u32 s72, s72, s73
	s_mul_hi_u32 s74, s70, s63
	s_addc_u32 s71, s71, s75
	s_addc_u32 s72, s74, 0
	s_mul_i32 s63, s70, s63
	s_add_u32 s63, s71, s63
	s_addc_u32 s71, 0, s72
	s_add_u32 s72, s62, s63
	s_cselect_b64 s[62:63], -1, 0
	s_cmp_lg_u64 s[62:63], 0
	s_addc_u32 s70, s70, s71
	s_mul_i32 s62, s59, s70
	s_mul_hi_u32 s63, s59, s72
	s_add_i32 s62, s63, s62
	s_mul_i32 s69, s69, s72
	s_add_i32 s62, s62, s69
	s_mul_i32 s59, s59, s72
	s_mul_hi_u32 s69, s70, s59
	s_mul_i32 s71, s70, s59
	s_mul_i32 s74, s72, s62
	s_mul_hi_u32 s59, s72, s59
	s_mul_hi_u32 s73, s72, s62
	s_add_u32 s59, s59, s74
	s_addc_u32 s73, 0, s73
	s_add_u32 s59, s59, s71
	s_mul_hi_u32 s63, s70, s62
	s_addc_u32 s59, s73, s69
	s_addc_u32 s63, s63, 0
	s_mul_i32 s62, s70, s62
	s_add_u32 s59, s59, s62
	s_addc_u32 s69, 0, s63
	s_add_u32 s59, s72, s59
	s_cselect_b64 s[62:63], -1, 0
	s_cmp_lg_u64 s[62:63], 0
	s_addc_u32 s69, s70, s69
	s_ashr_i32 s62, s7, 31
	s_add_u32 s70, s6, s62
	s_mov_b32 s63, s62
	s_addc_u32 s71, s7, s62
	s_xor_b64 s[70:71], s[70:71], s[62:63]
	s_mul_i32 s72, s70, s69
	s_mul_hi_u32 s73, s70, s59
	s_mul_hi_u32 s7, s70, s69
	s_add_u32 s72, s73, s72
	s_addc_u32 s7, 0, s7
	s_mul_hi_u32 s74, s71, s59
	s_mul_i32 s59, s71, s59
	s_add_u32 s59, s72, s59
	s_mul_hi_u32 s73, s71, s69
	s_addc_u32 s7, s7, s74
	s_addc_u32 s59, s73, 0
	s_mul_i32 s69, s71, s69
	s_add_u32 s7, s7, s69
	s_addc_u32 s59, 0, s59
	s_mul_i32 s69, s60, s59
	s_mul_hi_u32 s72, s60, s7
	s_add_i32 s69, s72, s69
	s_mul_i32 s72, s61, s7
	s_add_i32 s69, s69, s72
	s_sub_i32 s74, s71, s69
	s_mul_i32 s72, s60, s7
	s_sub_u32 s70, s70, s72
	s_cselect_b64 s[72:73], -1, 0
	s_cmp_lg_u64 s[72:73], 0
	s_subb_u32 s76, s74, s61
	s_sub_u32 s77, s70, s60
	s_cselect_b64 s[74:75], -1, 0
	s_cmp_lg_u64 s[74:75], 0
	s_subb_u32 s74, s76, 0
	s_cmp_ge_u32 s74, s61
	s_cselect_b32 s75, -1, 0
	s_cmp_ge_u32 s77, s60
	s_cselect_b32 s76, -1, 0
	s_cmp_eq_u32 s74, s61
	s_cselect_b32 s74, s76, s75
	s_add_u32 s75, s7, 1
	s_addc_u32 s76, s59, 0
	s_add_u32 s77, s7, 2
	s_addc_u32 s78, s59, 0
	s_cmp_lg_u32 s74, 0
	s_cselect_b32 s74, s77, s75
	s_cselect_b32 s75, s78, s76
	s_cmp_lg_u64 s[72:73], 0
	s_subb_u32 s69, s71, s69
	s_cmp_ge_u32 s69, s61
	s_cselect_b32 s71, -1, 0
	s_cmp_ge_u32 s70, s60
	s_cselect_b32 s60, -1, 0
	s_cmp_eq_u32 s69, s61
	s_cselect_b32 s60, s60, s71
	s_cmp_lg_u32 s60, 0
	s_cselect_b32 s61, s75, s59
	s_cselect_b32 s60, s74, s7
	s_xor_b64 s[50:51], s[62:63], s[50:51]
	s_xor_b64 s[60:61], s[60:61], s[50:51]
	s_sub_u32 s50, s60, s50
	s_subb_u32 s51, s61, s51
	v_cvt_f32_u32_e32 v14, s28
	s_cbranch_execnz .LBB2_27
.LBB2_26:                               ;   in Loop: Header=BB2_21 Depth=2
	v_rcp_iflag_f32_e32 v15, v14
	s_sub_i32 s7, 0, s28
	v_mul_f32_e32 v15, 0x4f7ffffe, v15
	v_cvt_u32_f32_e32 v15, v15
	v_readfirstlane_b32 s50, v15
	s_mul_i32 s7, s7, s50
	s_mul_hi_u32 s7, s50, s7
	s_add_i32 s50, s50, s7
	s_mul_hi_u32 s7, s6, s50
	s_mul_i32 s51, s7, s28
	s_sub_i32 s6, s6, s51
	s_add_i32 s50, s7, 1
	s_sub_i32 s51, s6, s28
	s_cmp_ge_u32 s6, s28
	s_cselect_b32 s7, s50, s7
	s_cselect_b32 s6, s51, s6
	s_add_i32 s50, s7, 1
	s_cmp_ge_u32 s6, s28
	s_cselect_b32 s50, s50, s7
	s_mov_b32 s51, s58
.LBB2_27:                               ;   in Loop: Header=BB2_21 Depth=2
	s_or_b64 s[6:7], s[44:45], s[28:29]
	s_mov_b32 s59, s7
	s_cmp_lg_u64 s[58:59], 0
	s_cbranch_scc0 .LBB2_38
; %bb.28:                               ;   in Loop: Header=BB2_21 Depth=2
	s_ashr_i32 s6, s29, 31
	s_add_u32 s60, s28, s6
	s_mov_b32 s7, s6
	s_addc_u32 s61, s29, s6
	s_xor_b64 s[6:7], s[60:61], s[6:7]
	v_cvt_f32_u32_e32 v15, s6
	v_cvt_f32_u32_e32 v16, s7
	s_sub_u32 s59, 0, s6
	s_subb_u32 s62, 0, s7
	v_mac_f32_e32 v15, 0x4f800000, v16
	v_rcp_f32_e32 v15, v15
	v_mul_f32_e32 v15, 0x5f7ffffc, v15
	v_mul_f32_e32 v16, 0x2f800000, v15
	v_trunc_f32_e32 v16, v16
	v_mac_f32_e32 v15, 0xcf800000, v16
	v_cvt_u32_f32_e32 v16, v16
	v_cvt_u32_f32_e32 v15, v15
	v_readfirstlane_b32 s63, v16
	v_readfirstlane_b32 s60, v15
	s_mul_i32 s61, s59, s63
	s_mul_hi_u32 s70, s59, s60
	s_mul_i32 s69, s62, s60
	s_add_i32 s61, s70, s61
	s_add_i32 s61, s61, s69
	s_mul_i32 s71, s59, s60
	s_mul_i32 s70, s60, s61
	s_mul_hi_u32 s72, s60, s71
	s_mul_hi_u32 s69, s60, s61
	s_add_u32 s70, s72, s70
	s_addc_u32 s69, 0, s69
	s_mul_hi_u32 s73, s63, s71
	s_mul_i32 s71, s63, s71
	s_add_u32 s70, s70, s71
	s_mul_hi_u32 s72, s63, s61
	s_addc_u32 s69, s69, s73
	s_addc_u32 s70, s72, 0
	s_mul_i32 s61, s63, s61
	s_add_u32 s61, s69, s61
	s_addc_u32 s69, 0, s70
	s_add_u32 s70, s60, s61
	s_cselect_b64 s[60:61], -1, 0
	s_cmp_lg_u64 s[60:61], 0
	s_addc_u32 s63, s63, s69
	s_mul_i32 s60, s59, s63
	s_mul_hi_u32 s61, s59, s70
	s_add_i32 s60, s61, s60
	s_mul_i32 s62, s62, s70
	s_add_i32 s60, s60, s62
	s_mul_i32 s59, s59, s70
	s_mul_hi_u32 s62, s63, s59
	s_mul_i32 s69, s63, s59
	s_mul_i32 s72, s70, s60
	s_mul_hi_u32 s59, s70, s59
	s_mul_hi_u32 s71, s70, s60
	s_add_u32 s59, s59, s72
	s_addc_u32 s71, 0, s71
	s_add_u32 s59, s59, s69
	s_mul_hi_u32 s61, s63, s60
	s_addc_u32 s59, s71, s62
	s_addc_u32 s61, s61, 0
	s_mul_i32 s60, s63, s60
	s_add_u32 s59, s59, s60
	s_addc_u32 s62, 0, s61
	s_add_u32 s59, s70, s59
	s_cselect_b64 s[60:61], -1, 0
	s_cmp_lg_u64 s[60:61], 0
	s_addc_u32 s69, s63, s62
	s_ashr_i32 s60, s45, 31
	s_add_u32 s62, s44, s60
	s_mov_b32 s61, s60
	s_addc_u32 s63, s45, s60
	s_xor_b64 s[62:63], s[62:63], s[60:61]
	s_mul_i32 s71, s62, s69
	s_mul_hi_u32 s72, s62, s59
	s_mul_hi_u32 s70, s62, s69
	s_add_u32 s71, s72, s71
	s_addc_u32 s70, 0, s70
	s_mul_hi_u32 s73, s63, s59
	s_mul_i32 s59, s63, s59
	s_add_u32 s59, s71, s59
	s_mul_hi_u32 s72, s63, s69
	s_addc_u32 s59, s70, s73
	s_addc_u32 s70, s72, 0
	s_mul_i32 s69, s63, s69
	s_add_u32 s59, s59, s69
	s_addc_u32 s69, 0, s70
	s_mul_i32 s69, s6, s69
	s_mul_hi_u32 s70, s6, s59
	s_add_i32 s69, s70, s69
	s_mul_i32 s70, s7, s59
	s_add_i32 s69, s69, s70
	s_sub_i32 s72, s63, s69
	s_mul_i32 s59, s6, s59
	s_sub_u32 s59, s62, s59
	s_cselect_b64 s[70:71], -1, 0
	s_cmp_lg_u64 s[70:71], 0
	s_subb_u32 s62, s72, s7
	s_sub_u32 s74, s59, s6
	s_cselect_b64 s[72:73], -1, 0
	s_cmp_lg_u64 s[72:73], 0
	s_subb_u32 s75, s62, 0
	s_cmp_ge_u32 s75, s7
	s_cselect_b32 s76, -1, 0
	s_cmp_ge_u32 s74, s6
	s_cselect_b32 s77, -1, 0
	s_cmp_eq_u32 s75, s7
	s_cselect_b32 s76, s77, s76
	s_cmp_lg_u64 s[72:73], 0
	s_subb_u32 s62, s62, s7
	s_sub_u32 s77, s74, s6
	s_cselect_b64 s[72:73], -1, 0
	s_cmp_lg_u64 s[72:73], 0
	s_subb_u32 s62, s62, 0
	s_cmp_lg_u32 s76, 0
	s_cselect_b32 s72, s77, s74
	s_cselect_b32 s62, s62, s75
	s_cmp_lg_u64 s[70:71], 0
	s_subb_u32 s63, s63, s69
	s_cmp_ge_u32 s63, s7
	s_cselect_b32 s69, -1, 0
	s_cmp_ge_u32 s59, s6
	s_cselect_b32 s6, -1, 0
	s_cmp_eq_u32 s63, s7
	s_cselect_b32 s6, s6, s69
	s_cmp_lg_u32 s6, 0
	s_cselect_b32 s7, s62, s63
	s_cselect_b32 s6, s72, s59
	s_xor_b64 s[6:7], s[6:7], s[60:61]
	s_sub_u32 s6, s6, s60
	s_subb_u32 s7, s7, s60
	s_cbranch_execnz .LBB2_30
.LBB2_29:                               ;   in Loop: Header=BB2_21 Depth=2
	v_rcp_iflag_f32_e32 v14, v14
	s_sub_i32 s6, 0, s28
	v_mul_f32_e32 v14, 0x4f7ffffe, v14
	v_cvt_u32_f32_e32 v14, v14
	v_readfirstlane_b32 s7, v14
	s_mul_i32 s6, s6, s7
	s_mul_hi_u32 s6, s7, s6
	s_add_i32 s7, s7, s6
	s_mul_hi_u32 s6, s44, s7
	s_mul_i32 s6, s6, s28
	s_sub_i32 s6, s44, s6
	s_sub_i32 s7, s6, s28
	s_cmp_ge_u32 s6, s28
	s_cselect_b32 s6, s7, s6
	s_sub_i32 s7, s6, s28
	s_cmp_ge_u32 s6, s28
	s_cselect_b32 s6, s7, s6
	s_mov_b32 s7, s58
.LBB2_30:                               ;   in Loop: Header=BB2_21 Depth=2
	v_mov_b32_e32 v14, s65
	v_mad_u64_u32 v[16:17], s[60:61], s6, v14, v[4:5]
	s_mul_i32 s59, s7, s65
	s_mul_i32 s60, s6, s47
	s_add_i32 s60, s60, s59
	v_mov_b32_e32 v14, s12
	v_add_u32_e32 v17, s60, v17
	v_mad_u64_u32 v[14:15], s[60:61], s48, v14, v[10:11]
	s_mul_i32 s59, s49, s12
	s_mul_i32 s60, s48, s13
	s_add_i32 s60, s60, s59
	v_add_u32_e32 v15, s60, v15
	v_mov_b32_e32 v18, s14
	v_mad_u64_u32 v[14:15], s[60:61], s50, v18, v[14:15]
	s_mul_i32 s59, s51, s14
	s_mul_i32 s60, s50, s15
	s_add_i32 s60, s60, s59
	v_add_u32_e32 v15, s60, v15
	v_mov_b32_e32 v18, s16
	v_mad_u64_u32 v[14:15], s[60:61], s6, v18, v[14:15]
	s_mul_i32 s7, s7, s16
	s_mul_i32 s6, s6, s17
	s_add_i32 s59, s6, s7
	v_cmp_gt_i64_e32 vcc, 0, v[16:17]
	v_cmp_le_i64_e64 s[6:7], s[40:41], v[16:17]
	v_add_u32_e32 v15, s59, v15
	s_or_b64 s[6:7], vcc, s[6:7]
	s_or_b64 s[60:61], s[6:7], s[2:3]
	s_xor_b64 s[6:7], s[60:61], -1
	s_and_saveexec_b64 s[62:63], s[6:7]
	s_cbranch_execz .LBB2_34
; %bb.31:                               ;   in Loop: Header=BB2_21 Depth=2
	v_mov_b32_e32 v18, s46
	v_mad_u64_u32 v[18:19], s[6:7], s50, v18, v[6:7]
	s_mul_i32 s6, s51, s46
	s_mul_i32 s7, s50, s66
	s_add_i32 s7, s7, s6
	v_add_u32_e32 v19, s7, v19
	v_cmp_lt_i64_e32 vcc, -1, v[18:19]
	v_cmp_gt_i64_e64 s[6:7], s[38:39], v[18:19]
	s_mov_b64 s[50:51], -1
	s_and_b64 s[6:7], vcc, s[6:7]
	s_and_b64 s[70:71], s[4:5], s[6:7]
	s_and_saveexec_b64 s[6:7], s[70:71]
	s_cbranch_execz .LBB2_33
; %bb.32:                               ;   in Loop: Header=BB2_21 Depth=2
	v_mov_b32_e32 v21, s36
	v_mad_u64_u32 v[21:22], s[50:51], s48, v21, v[0:1]
	s_mul_i32 s49, s49, s36
	s_mul_i32 s48, s48, s37
	s_add_i32 s48, s48, s49
	v_add_u32_e32 v22, s48, v22
	v_mul_lo_u32 v23, v22, s22
	v_mul_lo_u32 v24, v21, s23
	v_mad_u64_u32 v[21:22], s[48:49], v21, s22, 0
	v_mul_lo_u32 v25, v19, s24
	v_mul_lo_u32 v26, v18, s25
	v_mad_u64_u32 v[18:19], s[48:49], v18, s24, 0
	;; [unrolled: 3-line block ×3, first 2 shown]
	v_add3_u32 v22, v22, v24, v23
	v_lshlrev_b64 v[21:22], 2, v[21:22]
	v_add3_u32 v19, v19, v26, v25
	v_mov_b32_e32 v23, s53
	v_add_co_u32_e32 v21, vcc, s52, v21
	v_lshlrev_b64 v[18:19], 2, v[18:19]
	v_add3_u32 v17, v17, v28, v27
	v_addc_co_u32_e32 v22, vcc, v23, v22, vcc
	v_add_co_u32_e32 v18, vcc, v21, v18
	v_lshlrev_b64 v[16:17], 2, v[16:17]
	v_addc_co_u32_e32 v19, vcc, v22, v19, vcc
	v_add_co_u32_e32 v16, vcc, v18, v16
	v_addc_co_u32_e32 v17, vcc, v19, v17, vcc
	v_add_co_u32_e32 v16, vcc, v16, v12
	v_addc_co_u32_e32 v17, vcc, v17, v13, vcc
	global_load_dword v18, v[16:17], off
	v_lshlrev_b64 v[16:17], 1, v[14:15]
	v_mov_b32_e32 v19, s55
	v_add_co_u32_e32 v16, vcc, s54, v16
	v_addc_co_u32_e32 v17, vcc, v19, v17, vcc
	s_xor_b64 s[50:51], exec, -1
	s_waitcnt vmcnt(0)
	v_cvt_f16_f32_e32 v18, v18
	global_store_short v[16:17], v18, off
.LBB2_33:                               ;   in Loop: Header=BB2_21 Depth=2
	s_or_b64 exec, exec, s[6:7]
	s_andn2_b64 s[6:7], s[60:61], exec
	s_and_b64 s[48:49], s[50:51], exec
	s_or_b64 s[60:61], s[6:7], s[48:49]
.LBB2_34:                               ;   in Loop: Header=BB2_21 Depth=2
	s_or_b64 exec, exec, s[62:63]
	s_and_saveexec_b64 s[6:7], s[60:61]
	s_cbranch_execz .LBB2_20
; %bb.35:                               ;   in Loop: Header=BB2_21 Depth=2
	v_lshlrev_b64 v[14:15], 1, v[14:15]
	v_mov_b32_e32 v16, s55
	v_add_co_u32_e32 v14, vcc, s54, v14
	v_addc_co_u32_e32 v15, vcc, v16, v15, vcc
	global_store_short v[14:15], v20, off
	s_branch .LBB2_20
.LBB2_36:                               ;   in Loop: Header=BB2_21 Depth=2
                                        ; implicit-def: $sgpr48_sgpr49
	s_branch .LBB2_23
.LBB2_37:                               ;   in Loop: Header=BB2_21 Depth=2
                                        ; implicit-def: $sgpr50_sgpr51
	v_cvt_f32_u32_e32 v14, s28
	s_branch .LBB2_26
.LBB2_38:                               ;   in Loop: Header=BB2_21 Depth=2
                                        ; implicit-def: $sgpr6_sgpr7
	s_branch .LBB2_29
.LBB2_39:
	s_endpgm
.LBB2_40:
                                        ; implicit-def: $vgpr0_vgpr1
	s_branch .LBB2_3
.LBB2_41:
                                        ; implicit-def: $vgpr8_vgpr9
	v_cvt_f32_u32_e32 v3, s6
	s_branch .LBB2_7
	.section	.rodata,"a",@progbits
	.p2align	6, 0x0
	.amdhsa_kernel _ZL16im2col_3d_kernelI6__halfEvPKfPT_llllllllllllllllllllllllllllliiiiiiiii
		.amdhsa_group_segment_fixed_size 0
		.amdhsa_private_segment_fixed_size 0
		.amdhsa_kernarg_size 544
		.amdhsa_user_sgpr_count 6
		.amdhsa_user_sgpr_private_segment_buffer 1
		.amdhsa_user_sgpr_dispatch_ptr 0
		.amdhsa_user_sgpr_queue_ptr 0
		.amdhsa_user_sgpr_kernarg_segment_ptr 1
		.amdhsa_user_sgpr_dispatch_id 0
		.amdhsa_user_sgpr_flat_scratch_init 0
		.amdhsa_user_sgpr_private_segment_size 0
		.amdhsa_uses_dynamic_stack 0
		.amdhsa_system_sgpr_private_segment_wavefront_offset 0
		.amdhsa_system_sgpr_workgroup_id_x 1
		.amdhsa_system_sgpr_workgroup_id_y 1
		.amdhsa_system_sgpr_workgroup_id_z 1
		.amdhsa_system_sgpr_workgroup_info 0
		.amdhsa_system_vgpr_workitem_id 0
		.amdhsa_next_free_vgpr 29
		.amdhsa_next_free_sgpr 79
		.amdhsa_reserve_vcc 1
		.amdhsa_reserve_flat_scratch 0
		.amdhsa_float_round_mode_32 0
		.amdhsa_float_round_mode_16_64 0
		.amdhsa_float_denorm_mode_32 3
		.amdhsa_float_denorm_mode_16_64 3
		.amdhsa_dx10_clamp 1
		.amdhsa_ieee_mode 1
		.amdhsa_fp16_overflow 0
		.amdhsa_exception_fp_ieee_invalid_op 0
		.amdhsa_exception_fp_denorm_src 0
		.amdhsa_exception_fp_ieee_div_zero 0
		.amdhsa_exception_fp_ieee_overflow 0
		.amdhsa_exception_fp_ieee_underflow 0
		.amdhsa_exception_fp_ieee_inexact 0
		.amdhsa_exception_int_div_zero 0
	.end_amdhsa_kernel
	.section	.text._ZL16im2col_3d_kernelI6__halfEvPKfPT_llllllllllllllllllllllllllllliiiiiiiii,"axG",@progbits,_ZL16im2col_3d_kernelI6__halfEvPKfPT_llllllllllllllllllllllllllllliiiiiiiii,comdat
.Lfunc_end2:
	.size	_ZL16im2col_3d_kernelI6__halfEvPKfPT_llllllllllllllllllllllllllllliiiiiiiii, .Lfunc_end2-_ZL16im2col_3d_kernelI6__halfEvPKfPT_llllllllllllllllllllllllllllliiiiiiiii
                                        ; -- End function
	.set _ZL16im2col_3d_kernelI6__halfEvPKfPT_llllllllllllllllllllllllllllliiiiiiiii.num_vgpr, 29
	.set _ZL16im2col_3d_kernelI6__halfEvPKfPT_llllllllllllllllllllllllllllliiiiiiiii.num_agpr, 0
	.set _ZL16im2col_3d_kernelI6__halfEvPKfPT_llllllllllllllllllllllllllllliiiiiiiii.numbered_sgpr, 79
	.set _ZL16im2col_3d_kernelI6__halfEvPKfPT_llllllllllllllllllllllllllllliiiiiiiii.num_named_barrier, 0
	.set _ZL16im2col_3d_kernelI6__halfEvPKfPT_llllllllllllllllllllllllllllliiiiiiiii.private_seg_size, 0
	.set _ZL16im2col_3d_kernelI6__halfEvPKfPT_llllllllllllllllllllllllllllliiiiiiiii.uses_vcc, 1
	.set _ZL16im2col_3d_kernelI6__halfEvPKfPT_llllllllllllllllllllllllllllliiiiiiiii.uses_flat_scratch, 0
	.set _ZL16im2col_3d_kernelI6__halfEvPKfPT_llllllllllllllllllllllllllllliiiiiiiii.has_dyn_sized_stack, 0
	.set _ZL16im2col_3d_kernelI6__halfEvPKfPT_llllllllllllllllllllllllllllliiiiiiiii.has_recursion, 0
	.set _ZL16im2col_3d_kernelI6__halfEvPKfPT_llllllllllllllllllllllllllllliiiiiiiii.has_indirect_call, 0
	.section	.AMDGPU.csdata,"",@progbits
; Kernel info:
; codeLenInByte = 6092
; TotalNumSgprs: 83
; NumVgprs: 29
; ScratchSize: 0
; MemoryBound: 0
; FloatMode: 240
; IeeeMode: 1
; LDSByteSize: 0 bytes/workgroup (compile time only)
; SGPRBlocks: 10
; VGPRBlocks: 7
; NumSGPRsForWavesPerEU: 83
; NumVGPRsForWavesPerEU: 29
; Occupancy: 8
; WaveLimiterHint : 1
; COMPUTE_PGM_RSRC2:SCRATCH_EN: 0
; COMPUTE_PGM_RSRC2:USER_SGPR: 6
; COMPUTE_PGM_RSRC2:TRAP_HANDLER: 0
; COMPUTE_PGM_RSRC2:TGID_X_EN: 1
; COMPUTE_PGM_RSRC2:TGID_Y_EN: 1
; COMPUTE_PGM_RSRC2:TGID_Z_EN: 1
; COMPUTE_PGM_RSRC2:TIDIG_COMP_CNT: 0
	.section	.text._ZL16im2col_3d_kernelIfEvPKfPT_llllllllllllllllllllllllllllliiiiiiiii,"axG",@progbits,_ZL16im2col_3d_kernelIfEvPKfPT_llllllllllllllllllllllllllllliiiiiiiii,comdat
	.globl	_ZL16im2col_3d_kernelIfEvPKfPT_llllllllllllllllllllllllllllliiiiiiiii ; -- Begin function _ZL16im2col_3d_kernelIfEvPKfPT_llllllllllllllllllllllllllllliiiiiiiii
	.p2align	8
	.type	_ZL16im2col_3d_kernelIfEvPKfPT_llllllllllllllllllllllllllllliiiiiiiii,@function
_ZL16im2col_3d_kernelIfEvPKfPT_llllllllllllllllllllllllllllliiiiiiiii: ; @_ZL16im2col_3d_kernelIfEvPKfPT_llllllllllllllllllllllllllllliiiiiiiii
; %bb.0:
	s_load_dword s0, s[4:5], 0x12c
	s_load_dwordx2 s[34:35], s[4:5], 0xa0
	v_mov_b32_e32 v3, 0
	s_waitcnt lgkmcnt(0)
	s_and_b32 s0, s0, 0xffff
	s_mul_i32 s6, s6, s0
	v_add_u32_e32 v2, s6, v0
	v_cmp_gt_i64_e32 vcc, s[34:35], v[2:3]
	s_and_saveexec_b64 s[0:1], vcc
	s_cbranch_execz .LBB3_37
; %bb.1:
	s_load_dwordx2 s[12:13], s[4:5], 0x78
	s_mov_b32 s0, 0
	s_mov_b32 s10, s7
	s_waitcnt lgkmcnt(0)
	s_mov_b32 s1, s13
	s_cmp_lg_u64 s[0:1], 0
	s_cbranch_scc0 .LBB3_38
; %bb.2:
	s_ashr_i32 s2, s13, 31
	s_add_u32 s0, s12, s2
	s_mov_b32 s3, s2
	s_addc_u32 s1, s13, s2
	s_xor_b64 s[6:7], s[0:1], s[2:3]
	v_cvt_f32_u32_e32 v0, s6
	v_cvt_f32_u32_e32 v1, s7
	s_sub_u32 s3, 0, s6
	s_subb_u32 s9, 0, s7
	v_add_co_u32_e32 v5, vcc, 0, v2
	v_madmk_f32 v0, v1, 0x4f800000, v0
	v_rcp_f32_e32 v0, v0
	v_mul_f32_e32 v0, 0x5f7ffffc, v0
	v_mul_f32_e32 v1, 0x2f800000, v0
	v_trunc_f32_e32 v1, v1
	v_madmk_f32 v0, v1, 0xcf800000, v0
	v_cvt_u32_f32_e32 v1, v1
	v_cvt_u32_f32_e32 v0, v0
	v_readfirstlane_b32 s11, v1
	v_readfirstlane_b32 s0, v0
	s_mul_i32 s1, s3, s11
	s_mul_hi_u32 s15, s3, s0
	s_mul_i32 s14, s9, s0
	s_add_i32 s1, s15, s1
	s_add_i32 s1, s1, s14
	s_mul_i32 s16, s3, s0
	s_mul_i32 s15, s0, s1
	s_mul_hi_u32 s17, s0, s16
	s_mul_hi_u32 s14, s0, s1
	s_add_u32 s15, s17, s15
	s_addc_u32 s14, 0, s14
	s_mul_hi_u32 s18, s11, s16
	s_mul_i32 s16, s11, s16
	s_add_u32 s15, s15, s16
	s_mul_hi_u32 s17, s11, s1
	s_addc_u32 s14, s14, s18
	s_addc_u32 s15, s17, 0
	s_mul_i32 s1, s11, s1
	s_add_u32 s1, s14, s1
	s_addc_u32 s14, 0, s15
	s_add_u32 s15, s0, s1
	s_cselect_b64 s[0:1], -1, 0
	s_cmp_lg_u64 s[0:1], 0
	s_addc_u32 s11, s11, s14
	s_mul_i32 s0, s3, s11
	s_mul_hi_u32 s1, s3, s15
	s_add_i32 s0, s1, s0
	s_mul_i32 s9, s9, s15
	s_add_i32 s0, s0, s9
	s_mul_i32 s3, s3, s15
	s_mul_hi_u32 s9, s11, s3
	s_mul_i32 s14, s11, s3
	s_mul_i32 s17, s15, s0
	s_mul_hi_u32 s3, s15, s3
	s_mul_hi_u32 s16, s15, s0
	s_add_u32 s3, s3, s17
	s_addc_u32 s16, 0, s16
	s_add_u32 s3, s3, s14
	s_mul_hi_u32 s1, s11, s0
	s_addc_u32 s3, s16, s9
	s_addc_u32 s1, s1, 0
	s_mul_i32 s0, s11, s0
	s_add_u32 s0, s3, s0
	s_addc_u32 s3, 0, s1
	s_add_u32 s9, s15, s0
	s_cselect_b64 s[0:1], -1, 0
	s_cmp_lg_u64 s[0:1], 0
	s_addc_u32 s3, s11, s3
	v_mad_u64_u32 v[0:1], s[0:1], v5, s3, 0
	v_mul_hi_u32 v3, v5, s9
	v_addc_co_u32_e64 v6, s[0:1], 0, 0, vcc
	v_add_co_u32_e32 v7, vcc, v3, v0
	v_addc_co_u32_e32 v8, vcc, 0, v1, vcc
	v_mad_u64_u32 v[0:1], s[0:1], v6, s9, 0
	v_mad_u64_u32 v[3:4], s[0:1], v6, s3, 0
	v_add_co_u32_e32 v0, vcc, v7, v0
	v_addc_co_u32_e32 v0, vcc, v8, v1, vcc
	v_addc_co_u32_e32 v1, vcc, 0, v4, vcc
	v_add_co_u32_e32 v3, vcc, v0, v3
	v_addc_co_u32_e32 v4, vcc, 0, v1, vcc
	v_mul_lo_u32 v7, s7, v3
	v_mul_lo_u32 v8, s6, v4
	v_mad_u64_u32 v[0:1], s[0:1], s6, v3, 0
	v_add3_u32 v1, v1, v8, v7
	v_sub_u32_e32 v7, v6, v1
	v_mov_b32_e32 v8, s7
	v_sub_co_u32_e32 v0, vcc, v5, v0
	v_subb_co_u32_e64 v5, s[0:1], v7, v8, vcc
	v_subrev_co_u32_e64 v7, s[0:1], s6, v0
	v_subbrev_co_u32_e64 v5, s[0:1], 0, v5, s[0:1]
	v_cmp_le_u32_e64 s[0:1], s7, v5
	v_cndmask_b32_e64 v8, 0, -1, s[0:1]
	v_cmp_le_u32_e64 s[0:1], s6, v7
	v_cndmask_b32_e64 v7, 0, -1, s[0:1]
	v_cmp_eq_u32_e64 s[0:1], s7, v5
	v_cndmask_b32_e64 v5, v8, v7, s[0:1]
	v_add_co_u32_e64 v7, s[0:1], 2, v3
	v_subb_co_u32_e32 v1, vcc, v6, v1, vcc
	v_addc_co_u32_e64 v8, s[0:1], 0, v4, s[0:1]
	v_cmp_le_u32_e32 vcc, s7, v1
	v_add_co_u32_e64 v9, s[0:1], 1, v3
	v_cndmask_b32_e64 v6, 0, -1, vcc
	v_cmp_le_u32_e32 vcc, s6, v0
	v_addc_co_u32_e64 v10, s[0:1], 0, v4, s[0:1]
	v_cndmask_b32_e64 v0, 0, -1, vcc
	v_cmp_eq_u32_e32 vcc, s7, v1
	v_cmp_ne_u32_e64 s[0:1], 0, v5
	v_cndmask_b32_e32 v0, v6, v0, vcc
	v_cndmask_b32_e64 v5, v10, v8, s[0:1]
	v_cmp_ne_u32_e32 vcc, 0, v0
	v_cndmask_b32_e64 v1, v9, v7, s[0:1]
	v_cndmask_b32_e32 v0, v4, v5, vcc
	v_cndmask_b32_e32 v1, v3, v1, vcc
	v_xor_b32_e32 v3, s2, v0
	v_xor_b32_e32 v0, s2, v1
	v_mov_b32_e32 v1, s2
	v_subrev_co_u32_e32 v0, vcc, s2, v0
	v_subb_co_u32_e32 v1, vcc, v3, v1, vcc
	s_cbranch_execnz .LBB3_4
.LBB3_3:
	v_cvt_f32_u32_e32 v0, s12
	s_sub_i32 s0, 0, s12
	v_rcp_iflag_f32_e32 v0, v0
	v_mul_f32_e32 v0, 0x4f7ffffe, v0
	v_cvt_u32_f32_e32 v0, v0
	v_mul_lo_u32 v1, s0, v0
	v_mul_hi_u32 v1, v0, v1
	v_add_u32_e32 v0, v0, v1
	v_mul_hi_u32 v0, v2, v0
	v_mul_lo_u32 v1, v0, s12
	v_add_u32_e32 v3, 1, v0
	v_sub_u32_e32 v1, v2, v1
	v_subrev_u32_e32 v4, s12, v1
	v_cmp_le_u32_e32 vcc, s12, v1
	v_cndmask_b32_e32 v1, v1, v4, vcc
	v_cndmask_b32_e32 v0, v0, v3, vcc
	v_add_u32_e32 v3, 1, v0
	v_cmp_le_u32_e32 vcc, s12, v1
	v_cndmask_b32_e32 v0, v0, v3, vcc
	v_mov_b32_e32 v1, 0
.LBB3_4:
	s_load_dwordx4 s[28:31], s[4:5], 0x60
	s_mov_b32 s11, 0
	v_mov_b32_e32 v3, s10
	v_mov_b32_e32 v4, s11
	s_waitcnt lgkmcnt(0)
	v_cmp_le_i64_e32 vcc, s[30:31], v[3:4]
	s_cbranch_vccnz .LBB3_37
; %bb.5:
	s_load_dwordx2 s[6:7], s[4:5], 0x50
	s_mov_b32 s0, s11
	s_waitcnt lgkmcnt(0)
	s_mov_b32 s1, s7
	s_cmp_lg_u64 s[0:1], 0
	s_cbranch_scc0 .LBB3_39
; %bb.6:
	s_ashr_i32 s0, s7, 31
	s_add_u32 s2, s6, s0
	s_mov_b32 s1, s0
	s_addc_u32 s3, s7, s0
	s_xor_b64 s[14:15], s[2:3], s[0:1]
	v_cvt_f32_u32_e32 v3, s14
	v_cvt_f32_u32_e32 v4, s15
	s_sub_u32 s2, 0, s14
	s_subb_u32 s3, 0, s15
	v_add_co_u32_e32 v7, vcc, 0, v2
	v_madmk_f32 v3, v4, 0x4f800000, v3
	v_rcp_f32_e32 v3, v3
	v_mul_f32_e32 v3, 0x5f7ffffc, v3
	v_mul_f32_e32 v4, 0x2f800000, v3
	v_trunc_f32_e32 v4, v4
	v_madmk_f32 v3, v4, 0xcf800000, v3
	v_cvt_u32_f32_e32 v4, v4
	v_cvt_u32_f32_e32 v3, v3
	v_readfirstlane_b32 s9, v4
	v_readfirstlane_b32 s0, v3
	s_mul_i32 s1, s2, s9
	s_mul_hi_u32 s17, s2, s0
	s_mul_i32 s16, s3, s0
	s_add_i32 s1, s17, s1
	s_add_i32 s1, s1, s16
	s_mul_i32 s18, s2, s0
	s_mul_i32 s17, s0, s1
	s_mul_hi_u32 s19, s0, s18
	s_mul_hi_u32 s16, s0, s1
	s_add_u32 s17, s19, s17
	s_addc_u32 s16, 0, s16
	s_mul_hi_u32 s20, s9, s18
	s_mul_i32 s18, s9, s18
	s_add_u32 s17, s17, s18
	s_mul_hi_u32 s19, s9, s1
	s_addc_u32 s16, s16, s20
	s_addc_u32 s17, s19, 0
	s_mul_i32 s1, s9, s1
	s_add_u32 s1, s16, s1
	s_addc_u32 s16, 0, s17
	s_add_u32 s17, s0, s1
	s_cselect_b64 s[0:1], -1, 0
	s_cmp_lg_u64 s[0:1], 0
	s_addc_u32 s9, s9, s16
	s_mul_i32 s0, s2, s9
	s_mul_hi_u32 s1, s2, s17
	s_add_i32 s0, s1, s0
	s_mul_i32 s3, s3, s17
	s_add_i32 s0, s0, s3
	s_mul_i32 s2, s2, s17
	s_mul_hi_u32 s3, s9, s2
	s_mul_i32 s16, s9, s2
	s_mul_i32 s19, s17, s0
	s_mul_hi_u32 s2, s17, s2
	s_mul_hi_u32 s18, s17, s0
	s_add_u32 s2, s2, s19
	s_addc_u32 s18, 0, s18
	s_add_u32 s2, s2, s16
	s_mul_hi_u32 s1, s9, s0
	s_addc_u32 s2, s18, s3
	s_addc_u32 s1, s1, 0
	s_mul_i32 s0, s9, s0
	s_add_u32 s0, s2, s0
	s_addc_u32 s2, 0, s1
	s_add_u32 s3, s17, s0
	s_cselect_b64 s[0:1], -1, 0
	s_cmp_lg_u64 s[0:1], 0
	s_addc_u32 s2, s9, s2
	v_mad_u64_u32 v[3:4], s[0:1], v7, s2, 0
	v_mul_hi_u32 v5, v7, s3
	v_addc_co_u32_e64 v8, s[0:1], 0, 0, vcc
	v_add_co_u32_e32 v9, vcc, v5, v3
	v_addc_co_u32_e32 v10, vcc, 0, v4, vcc
	v_mad_u64_u32 v[3:4], s[0:1], v8, s3, 0
	v_mad_u64_u32 v[5:6], s[0:1], v8, s2, 0
	v_add_co_u32_e32 v3, vcc, v9, v3
	v_addc_co_u32_e32 v3, vcc, v10, v4, vcc
	v_addc_co_u32_e32 v4, vcc, 0, v6, vcc
	v_add_co_u32_e32 v3, vcc, v3, v5
	v_addc_co_u32_e32 v4, vcc, 0, v4, vcc
	v_mul_lo_u32 v5, s15, v3
	v_mul_lo_u32 v6, s14, v4
	v_mad_u64_u32 v[3:4], s[0:1], s14, v3, 0
	v_add3_u32 v4, v4, v6, v5
	v_sub_u32_e32 v5, v8, v4
	v_mov_b32_e32 v6, s15
	v_sub_co_u32_e32 v3, vcc, v7, v3
	v_subb_co_u32_e64 v5, s[0:1], v5, v6, vcc
	v_subrev_co_u32_e64 v7, s[0:1], s14, v3
	v_subbrev_co_u32_e64 v9, s[2:3], 0, v5, s[0:1]
	v_cmp_le_u32_e64 s[2:3], s15, v9
	v_cndmask_b32_e64 v10, 0, -1, s[2:3]
	v_cmp_le_u32_e64 s[2:3], s14, v7
	v_subb_co_u32_e64 v5, s[0:1], v5, v6, s[0:1]
	v_cndmask_b32_e64 v11, 0, -1, s[2:3]
	v_cmp_eq_u32_e64 s[2:3], s15, v9
	v_subrev_co_u32_e64 v6, s[0:1], s14, v7
	v_subb_co_u32_e32 v4, vcc, v8, v4, vcc
	v_cndmask_b32_e64 v10, v10, v11, s[2:3]
	v_subbrev_co_u32_e64 v5, s[0:1], 0, v5, s[0:1]
	v_cmp_le_u32_e32 vcc, s15, v4
	v_cmp_ne_u32_e64 s[0:1], 0, v10
	v_cndmask_b32_e64 v8, 0, -1, vcc
	v_cmp_le_u32_e32 vcc, s14, v3
	v_cndmask_b32_e64 v5, v9, v5, s[0:1]
	v_cndmask_b32_e64 v9, 0, -1, vcc
	v_cmp_eq_u32_e32 vcc, s15, v4
	v_cndmask_b32_e32 v8, v8, v9, vcc
	v_cmp_ne_u32_e32 vcc, 0, v8
	v_cndmask_b32_e32 v4, v4, v5, vcc
	v_cndmask_b32_e64 v5, v7, v6, s[0:1]
	v_cndmask_b32_e32 v3, v3, v5, vcc
	v_subrev_co_u32_e32 v8, vcc, 0, v3
	v_subbrev_co_u32_e32 v9, vcc, 0, v4, vcc
	v_cvt_f32_u32_e32 v3, s6
	s_cbranch_execnz .LBB3_8
.LBB3_7:
	v_rcp_iflag_f32_e32 v4, v3
	s_sub_i32 s0, 0, s6
	v_mov_b32_e32 v9, 0
	v_mul_f32_e32 v4, 0x4f7ffffe, v4
	v_cvt_u32_f32_e32 v4, v4
	v_mul_lo_u32 v5, s0, v4
	v_mul_hi_u32 v5, v4, v5
	v_add_u32_e32 v4, v4, v5
	v_mul_hi_u32 v4, v2, v4
	v_mul_lo_u32 v4, v4, s6
	v_sub_u32_e32 v4, v2, v4
	v_subrev_u32_e32 v5, s6, v4
	v_cmp_le_u32_e32 vcc, s6, v4
	v_cndmask_b32_e32 v4, v4, v5, vcc
	v_subrev_u32_e32 v5, s6, v4
	v_cmp_le_u32_e32 vcc, s6, v4
	v_cndmask_b32_e32 v8, v4, v5, vcc
.LBB3_8:
	v_mul_lo_u32 v4, v1, s12
	v_mul_lo_u32 v5, v0, s13
	v_mad_u64_u32 v[10:11], s[0:1], v0, s12, 0
	s_load_dwordx2 s[2:3], s[4:5], 0x88
	v_add3_u32 v11, v11, v5, v4
	v_sub_co_u32_e32 v2, vcc, v2, v10
	v_subb_co_u32_e32 v6, vcc, 0, v11, vcc
	s_waitcnt lgkmcnt(0)
	v_or_b32_e32 v5, s3, v6
	v_mov_b32_e32 v4, 0
	v_cmp_ne_u64_e32 vcc, 0, v[4:5]
                                        ; implicit-def: $vgpr4_vgpr5
	s_and_saveexec_b64 s[0:1], vcc
	s_xor_b64 s[12:13], exec, s[0:1]
	s_cbranch_execz .LBB3_10
; %bb.9:
	s_ashr_i32 s14, s3, 31
	s_add_u32 s0, s2, s14
	s_mov_b32 s15, s14
	s_addc_u32 s1, s3, s14
	s_xor_b64 s[16:17], s[0:1], s[14:15]
	v_cvt_f32_u32_e32 v4, s16
	v_cvt_f32_u32_e32 v5, s17
	s_sub_u32 s9, 0, s16
	s_subb_u32 s15, 0, s17
	v_ashrrev_i32_e32 v7, 31, v6
	v_madmk_f32 v4, v5, 0x4f800000, v4
	v_rcp_f32_e32 v4, v4
	v_mul_f32_e32 v4, 0x5f7ffffc, v4
	v_mul_f32_e32 v5, 0x2f800000, v4
	v_trunc_f32_e32 v5, v5
	v_madmk_f32 v4, v5, 0xcf800000, v4
	v_cvt_u32_f32_e32 v5, v5
	v_cvt_u32_f32_e32 v4, v4
	v_readfirstlane_b32 s18, v5
	v_readfirstlane_b32 s0, v4
	s_mul_i32 s1, s9, s18
	s_mul_hi_u32 s20, s9, s0
	s_mul_i32 s19, s15, s0
	s_add_i32 s1, s20, s1
	s_add_i32 s1, s1, s19
	s_mul_i32 s21, s9, s0
	s_mul_i32 s20, s0, s1
	s_mul_hi_u32 s22, s0, s21
	s_mul_hi_u32 s19, s0, s1
	s_add_u32 s20, s22, s20
	s_addc_u32 s19, 0, s19
	s_mul_hi_u32 s23, s18, s21
	s_mul_i32 s21, s18, s21
	s_add_u32 s20, s20, s21
	s_mul_hi_u32 s22, s18, s1
	s_addc_u32 s19, s19, s23
	s_addc_u32 s20, s22, 0
	s_mul_i32 s1, s18, s1
	s_add_u32 s1, s19, s1
	s_addc_u32 s19, 0, s20
	s_add_u32 s20, s0, s1
	s_cselect_b64 s[0:1], -1, 0
	s_cmp_lg_u64 s[0:1], 0
	s_addc_u32 s18, s18, s19
	s_mul_i32 s0, s9, s18
	s_mul_hi_u32 s1, s9, s20
	s_add_i32 s0, s1, s0
	s_mul_i32 s15, s15, s20
	s_add_i32 s0, s0, s15
	s_mul_i32 s9, s9, s20
	s_mul_hi_u32 s15, s18, s9
	s_mul_i32 s19, s18, s9
	s_mul_i32 s22, s20, s0
	s_mul_hi_u32 s9, s20, s9
	s_mul_hi_u32 s21, s20, s0
	s_add_u32 s9, s9, s22
	s_addc_u32 s21, 0, s21
	s_add_u32 s9, s9, s19
	s_mul_hi_u32 s1, s18, s0
	s_addc_u32 s9, s21, s15
	s_addc_u32 s1, s1, 0
	s_mul_i32 s0, s18, s0
	s_add_u32 s0, s9, s0
	s_addc_u32 s9, 0, s1
	s_add_u32 s15, s20, s0
	s_cselect_b64 s[0:1], -1, 0
	s_cmp_lg_u64 s[0:1], 0
	v_add_co_u32_e32 v4, vcc, v2, v7
	s_addc_u32 s9, s18, s9
	v_xor_b32_e32 v14, v4, v7
	v_mad_u64_u32 v[4:5], s[0:1], v14, s9, 0
	v_mul_hi_u32 v13, v14, s15
	v_addc_co_u32_e32 v12, vcc, v6, v7, vcc
	v_xor_b32_e32 v15, v12, v7
	v_add_co_u32_e32 v16, vcc, v13, v4
	v_addc_co_u32_e32 v17, vcc, 0, v5, vcc
	v_mad_u64_u32 v[4:5], s[0:1], v15, s15, 0
	v_mad_u64_u32 v[12:13], s[0:1], v15, s9, 0
	v_add_co_u32_e32 v4, vcc, v16, v4
	v_addc_co_u32_e32 v4, vcc, v17, v5, vcc
	v_addc_co_u32_e32 v5, vcc, 0, v13, vcc
	v_add_co_u32_e32 v12, vcc, v4, v12
	v_addc_co_u32_e32 v13, vcc, 0, v5, vcc
	v_mul_lo_u32 v16, s17, v12
	v_mul_lo_u32 v17, s16, v13
	v_mad_u64_u32 v[4:5], s[0:1], s16, v12, 0
	v_xor_b32_e32 v7, s14, v7
	v_add3_u32 v5, v5, v17, v16
	v_sub_u32_e32 v16, v15, v5
	v_mov_b32_e32 v17, s17
	v_sub_co_u32_e32 v4, vcc, v14, v4
	v_subb_co_u32_e64 v14, s[0:1], v16, v17, vcc
	v_subrev_co_u32_e64 v16, s[0:1], s16, v4
	v_subbrev_co_u32_e64 v14, s[0:1], 0, v14, s[0:1]
	v_cmp_le_u32_e64 s[0:1], s17, v14
	v_cndmask_b32_e64 v17, 0, -1, s[0:1]
	v_cmp_le_u32_e64 s[0:1], s16, v16
	v_cndmask_b32_e64 v16, 0, -1, s[0:1]
	v_cmp_eq_u32_e64 s[0:1], s17, v14
	v_cndmask_b32_e64 v14, v17, v16, s[0:1]
	v_add_co_u32_e64 v16, s[0:1], 2, v12
	v_subb_co_u32_e32 v5, vcc, v15, v5, vcc
	v_addc_co_u32_e64 v17, s[0:1], 0, v13, s[0:1]
	v_cmp_le_u32_e32 vcc, s17, v5
	v_add_co_u32_e64 v18, s[0:1], 1, v12
	v_cndmask_b32_e64 v15, 0, -1, vcc
	v_cmp_le_u32_e32 vcc, s16, v4
	v_addc_co_u32_e64 v19, s[0:1], 0, v13, s[0:1]
	v_cndmask_b32_e64 v4, 0, -1, vcc
	v_cmp_eq_u32_e32 vcc, s17, v5
	v_cmp_ne_u32_e64 s[0:1], 0, v14
	v_cndmask_b32_e32 v4, v15, v4, vcc
	v_cndmask_b32_e64 v14, v19, v17, s[0:1]
	v_cmp_ne_u32_e32 vcc, 0, v4
	v_cndmask_b32_e64 v5, v18, v16, s[0:1]
	v_cndmask_b32_e32 v4, v13, v14, vcc
	v_cndmask_b32_e32 v5, v12, v5, vcc
	v_xor_b32_e32 v12, v4, v7
	v_xor_b32_e32 v4, v5, v7
	v_sub_co_u32_e32 v4, vcc, v4, v7
	v_subb_co_u32_e32 v5, vcc, v12, v7, vcc
.LBB3_10:
	s_andn2_saveexec_b64 s[0:1], s[12:13]
	s_cbranch_execz .LBB3_12
; %bb.11:
	v_cvt_f32_u32_e32 v4, s2
	s_sub_i32 s9, 0, s2
	v_rcp_iflag_f32_e32 v4, v4
	v_mul_f32_e32 v4, 0x4f7ffffe, v4
	v_cvt_u32_f32_e32 v4, v4
	v_mul_lo_u32 v5, s9, v4
	v_mul_hi_u32 v5, v4, v5
	v_add_u32_e32 v4, v4, v5
	v_mul_hi_u32 v4, v2, v4
	v_mul_lo_u32 v5, v4, s2
	v_add_u32_e32 v7, 1, v4
	v_sub_u32_e32 v5, v2, v5
	v_subrev_u32_e32 v12, s2, v5
	v_cmp_le_u32_e32 vcc, s2, v5
	v_cndmask_b32_e32 v5, v5, v12, vcc
	v_cndmask_b32_e32 v4, v4, v7, vcc
	v_add_u32_e32 v7, 1, v4
	v_cmp_le_u32_e32 vcc, s2, v5
	v_cndmask_b32_e32 v4, v4, v7, vcc
	v_mov_b32_e32 v5, 0
.LBB3_12:
	s_or_b64 exec, exec, s[0:1]
	v_mul_lo_u32 v7, v5, s2
	v_mul_lo_u32 v14, v4, s3
	v_mad_u64_u32 v[12:13], s[0:1], v4, s2, 0
	v_add3_u32 v13, v13, v14, v7
	v_sub_co_u32_e32 v2, vcc, v2, v12
	v_subb_co_u32_e32 v14, vcc, v6, v13, vcc
	v_or_b32_e32 v7, s7, v14
	v_mov_b32_e32 v6, 0
	v_cmp_ne_u64_e32 vcc, 0, v[6:7]
                                        ; implicit-def: $vgpr6_vgpr7
	s_and_saveexec_b64 s[0:1], vcc
	s_xor_b64 s[2:3], exec, s[0:1]
	s_cbranch_execz .LBB3_14
; %bb.13:
	s_ashr_i32 s12, s7, 31
	s_add_u32 s0, s6, s12
	s_mov_b32 s13, s12
	s_addc_u32 s1, s7, s12
	s_xor_b64 s[14:15], s[0:1], s[12:13]
	v_cvt_f32_u32_e32 v3, s14
	v_cvt_f32_u32_e32 v6, s15
	s_sub_u32 s9, 0, s14
	s_subb_u32 s13, 0, s15
	v_ashrrev_i32_e32 v15, 31, v14
	v_madmk_f32 v3, v6, 0x4f800000, v3
	v_rcp_f32_e32 v3, v3
	v_add_co_u32_e32 v2, vcc, v2, v15
	v_mul_f32_e32 v3, 0x5f7ffffc, v3
	v_mul_f32_e32 v6, 0x2f800000, v3
	v_trunc_f32_e32 v6, v6
	v_madmk_f32 v3, v6, 0xcf800000, v3
	v_cvt_u32_f32_e32 v6, v6
	v_cvt_u32_f32_e32 v3, v3
	v_readfirstlane_b32 s16, v6
	v_readfirstlane_b32 s0, v3
	s_mul_i32 s1, s9, s16
	s_mul_hi_u32 s18, s9, s0
	s_mul_i32 s17, s13, s0
	s_add_i32 s1, s18, s1
	s_add_i32 s1, s1, s17
	s_mul_i32 s19, s9, s0
	s_mul_i32 s18, s0, s1
	s_mul_hi_u32 s20, s0, s19
	s_mul_hi_u32 s17, s0, s1
	s_add_u32 s18, s20, s18
	s_addc_u32 s17, 0, s17
	s_mul_hi_u32 s21, s16, s19
	s_mul_i32 s19, s16, s19
	s_add_u32 s18, s18, s19
	s_mul_hi_u32 s20, s16, s1
	s_addc_u32 s17, s17, s21
	s_addc_u32 s18, s20, 0
	s_mul_i32 s1, s16, s1
	s_add_u32 s1, s17, s1
	s_addc_u32 s17, 0, s18
	s_add_u32 s18, s0, s1
	s_cselect_b64 s[0:1], -1, 0
	s_cmp_lg_u64 s[0:1], 0
	s_addc_u32 s16, s16, s17
	s_mul_i32 s0, s9, s16
	s_mul_hi_u32 s1, s9, s18
	s_add_i32 s0, s1, s0
	s_mul_i32 s13, s13, s18
	s_add_i32 s0, s0, s13
	s_mul_i32 s9, s9, s18
	s_mul_hi_u32 s13, s16, s9
	s_mul_i32 s17, s16, s9
	s_mul_i32 s20, s18, s0
	s_mul_hi_u32 s9, s18, s9
	s_mul_hi_u32 s19, s18, s0
	s_add_u32 s9, s9, s20
	s_addc_u32 s19, 0, s19
	s_add_u32 s9, s9, s17
	s_mul_hi_u32 s1, s16, s0
	s_addc_u32 s9, s19, s13
	s_addc_u32 s1, s1, 0
	s_mul_i32 s0, s16, s0
	s_add_u32 s0, s9, s0
	s_addc_u32 s9, 0, s1
	s_add_u32 s13, s18, s0
	s_cselect_b64 s[0:1], -1, 0
	s_cmp_lg_u64 s[0:1], 0
	s_addc_u32 s9, s16, s9
	v_addc_co_u32_e32 v6, vcc, v14, v15, vcc
	v_xor_b32_e32 v14, v2, v15
	v_mad_u64_u32 v[2:3], s[0:1], v14, s9, 0
	v_mul_hi_u32 v7, v14, s13
	v_xor_b32_e32 v16, v6, v15
	v_add_co_u32_e32 v17, vcc, v7, v2
	v_addc_co_u32_e32 v18, vcc, 0, v3, vcc
	v_mad_u64_u32 v[2:3], s[0:1], v16, s13, 0
	v_mad_u64_u32 v[6:7], s[0:1], v16, s9, 0
	v_add_co_u32_e32 v2, vcc, v17, v2
	v_addc_co_u32_e32 v2, vcc, v18, v3, vcc
	v_addc_co_u32_e32 v3, vcc, 0, v7, vcc
	v_add_co_u32_e32 v6, vcc, v2, v6
	v_addc_co_u32_e32 v7, vcc, 0, v3, vcc
	v_mul_lo_u32 v17, s15, v6
	v_mul_lo_u32 v18, s14, v7
	v_mad_u64_u32 v[2:3], s[0:1], s14, v6, 0
	v_add3_u32 v3, v3, v18, v17
	v_sub_u32_e32 v17, v16, v3
	v_mov_b32_e32 v18, s15
	v_sub_co_u32_e32 v2, vcc, v14, v2
	v_subb_co_u32_e64 v14, s[0:1], v17, v18, vcc
	v_subrev_co_u32_e64 v17, s[0:1], s14, v2
	v_subbrev_co_u32_e64 v14, s[0:1], 0, v14, s[0:1]
	v_cmp_le_u32_e64 s[0:1], s15, v14
	v_cndmask_b32_e64 v18, 0, -1, s[0:1]
	v_cmp_le_u32_e64 s[0:1], s14, v17
	v_cndmask_b32_e64 v17, 0, -1, s[0:1]
	v_cmp_eq_u32_e64 s[0:1], s15, v14
	v_cndmask_b32_e64 v14, v18, v17, s[0:1]
	v_add_co_u32_e64 v17, s[0:1], 2, v6
	v_subb_co_u32_e32 v3, vcc, v16, v3, vcc
	v_addc_co_u32_e64 v18, s[0:1], 0, v7, s[0:1]
	v_cmp_le_u32_e32 vcc, s15, v3
	v_add_co_u32_e64 v19, s[0:1], 1, v6
	v_cndmask_b32_e64 v16, 0, -1, vcc
	v_cmp_le_u32_e32 vcc, s14, v2
	v_addc_co_u32_e64 v20, s[0:1], 0, v7, s[0:1]
	v_cndmask_b32_e64 v2, 0, -1, vcc
	v_cmp_eq_u32_e32 vcc, s15, v3
	v_cmp_ne_u32_e64 s[0:1], 0, v14
	v_cndmask_b32_e32 v2, v16, v2, vcc
	v_cndmask_b32_e64 v14, v20, v18, s[0:1]
	v_cmp_ne_u32_e32 vcc, 0, v2
	v_cndmask_b32_e64 v3, v19, v17, s[0:1]
	v_cndmask_b32_e32 v2, v7, v14, vcc
	v_cndmask_b32_e32 v3, v6, v3, vcc
	v_xor_b32_e32 v7, s12, v15
	v_xor_b32_e32 v3, v3, v7
	;; [unrolled: 1-line block ×3, first 2 shown]
	v_sub_co_u32_e32 v6, vcc, v3, v7
	v_subb_co_u32_e32 v7, vcc, v2, v7, vcc
                                        ; implicit-def: $vgpr3
                                        ; implicit-def: $vgpr2
.LBB3_14:
	s_andn2_saveexec_b64 s[0:1], s[2:3]
	s_cbranch_execz .LBB3_16
; %bb.15:
	v_rcp_iflag_f32_e32 v3, v3
	s_sub_i32 s2, 0, s6
	v_mul_f32_e32 v3, 0x4f7ffffe, v3
	v_cvt_u32_f32_e32 v3, v3
	v_mul_lo_u32 v6, s2, v3
	v_mul_hi_u32 v6, v3, v6
	v_add_u32_e32 v3, v3, v6
	v_mul_hi_u32 v3, v2, v3
	v_mul_lo_u32 v6, v3, s6
	v_add_u32_e32 v7, 1, v3
	v_sub_u32_e32 v2, v2, v6
	v_subrev_u32_e32 v6, s6, v2
	v_cmp_le_u32_e32 vcc, s6, v2
	v_cndmask_b32_e32 v2, v2, v6, vcc
	v_cndmask_b32_e32 v3, v3, v7, vcc
	v_add_u32_e32 v6, 1, v3
	v_cmp_le_u32_e32 vcc, s6, v2
	v_cndmask_b32_e32 v6, v3, v6, vcc
	v_mov_b32_e32 v7, 0
.LBB3_16:
	s_or_b64 exec, exec, s[0:1]
	s_load_dwordx4 s[52:55], s[4:5], 0x0
	s_load_dwordx8 s[36:43], s[4:5], 0x18
	s_load_dwordx16 s[12:27], s[4:5], 0xb0
	s_load_dwordx8 s[44:51], s[4:5], 0xf8
	s_load_dwordx2 s[56:57], s[4:5], 0xf0
	s_load_dword s2, s[4:5], 0x118
	v_lshlrev_b64 v[12:13], 2, v[12:13]
	v_lshlrev_b64 v[10:11], 2, v[10:11]
	s_waitcnt lgkmcnt(0)
	s_ashr_i32 s0, s50, 31
	v_mul_lo_u32 v14, v9, s50
	v_mul_lo_u32 v15, v8, s0
	v_mad_u64_u32 v[2:3], s[0:1], v8, s50, 0
	s_ashr_i32 s0, s47, 31
	v_mov_b32_e32 v18, s0
	s_ashr_i32 s0, s51, 31
	v_add3_u32 v3, v3, v15, v14
	v_mul_lo_u32 v19, v7, s51
	v_mul_lo_u32 v20, v6, s0
	v_mad_u64_u32 v[14:15], s[0:1], v6, s51, 0
	s_ashr_i32 s0, s48, 31
	v_subrev_co_u32_e32 v2, vcc, s47, v2
	v_add3_u32 v15, v15, v20, v19
	v_mov_b32_e32 v20, s0
	s_ashr_i32 s0, s2, 31
	v_subb_co_u32_e32 v3, vcc, v3, v18, vcc
	v_mul_lo_u32 v21, v5, s2
	v_mul_lo_u32 v22, v4, s0
	v_mad_u64_u32 v[18:19], s[0:1], v4, s2, 0
	v_subrev_co_u32_e32 v4, vcc, s48, v14
	v_subb_co_u32_e32 v5, vcc, v15, v20, vcc
	s_ashr_i32 s0, s49, 31
	v_add3_u32 v19, v19, v22, v21
	v_mov_b32_e32 v20, s0
	v_mul_lo_u32 v21, v7, s6
	v_mul_lo_u32 v22, v6, s7
	v_mad_u64_u32 v[14:15], s[0:1], v6, s6, 0
	v_subrev_co_u32_e32 v6, vcc, s49, v18
	v_subb_co_u32_e32 v7, vcc, v19, v20, vcc
	v_mov_b32_e32 v18, s55
	v_add_co_u32_e32 v12, vcc, s54, v12
	v_addc_co_u32_e32 v13, vcc, v18, v13, vcc
	v_add3_u32 v15, v15, v22, v21
	v_add_co_u32_e32 v12, vcc, v12, v10
	s_mov_b32 s58, 0
	v_addc_co_u32_e32 v13, vcc, v13, v11, vcc
	v_lshlrev_b64 v[10:11], 2, v[14:15]
	s_mov_b32 s9, s58
	v_mov_b32_e32 v17, s9
	v_add_co_u32_e32 v10, vcc, v12, v10
	v_lshlrev_b64 v[8:9], 2, v[8:9]
	v_mov_b32_e32 v16, s8
	s_ashr_i32 s33, s44, 31
	s_ashr_i32 s47, s45, 31
	;; [unrolled: 1-line block ×3, first 2 shown]
	v_addc_co_u32_e32 v11, vcc, v13, v11, vcc
	v_add_co_u32_e32 v14, vcc, v10, v8
	s_sub_u32 s65, 0, s20
	v_cmp_gt_i64_e64 s[0:1], s[18:19], v[16:17]
	s_mov_b32 s62, s44
	s_mov_b32 s63, s45
	v_addc_co_u32_e32 v15, vcc, v11, v9, vcc
	s_subb_u32 s66, 0, s21
	s_branch .LBB3_18
.LBB3_17:                               ;   in Loop: Header=BB3_18 Depth=1
	s_add_u32 s10, s10, 0xffff
	v_mov_b32_e32 v8, s30
	s_addc_u32 s11, s11, 0
	v_mov_b32_e32 v9, s31
	v_cmp_ge_i64_e32 vcc, s[10:11], v[8:9]
	s_cbranch_vccnz .LBB3_37
.LBB3_18:                               ; =>This Loop Header: Depth=1
                                        ;     Child Loop BB3_22 Depth 2
	s_andn2_b64 vcc, exec, s[0:1]
	s_cbranch_vccnz .LBB3_17
; %bb.19:                               ;   in Loop: Header=BB3_18 Depth=1
	v_mov_b32_e32 v8, s62
	v_mad_u64_u32 v[8:9], s[2:3], s10, v8, v[2:3]
	s_mul_i32 s2, s11, s62
	s_mul_i32 s3, s10, s33
	s_add_i32 s3, s3, s2
	v_add_u32_e32 v9, s3, v9
	s_mul_i32 s2, s10, s35
	s_mul_hi_u32 s3, s10, s34
	s_add_i32 s2, s3, s2
	s_mul_i32 s3, s11, s34
	s_add_i32 s7, s2, s3
	v_mul_lo_u32 v12, v9, s56
	v_mul_lo_u32 v13, v8, s57
	v_mad_u64_u32 v[10:11], s[2:3], v8, s56, 0
	s_mul_i32 s6, s10, s34
	s_lshl_b64 s[6:7], s[6:7], 2
	v_cmp_gt_i64_e64 s[2:3], 0, v[8:9]
	v_cmp_gt_i64_e64 s[4:5], s[42:43], v[8:9]
	v_add3_u32 v11, v11, v13, v12
	v_mov_b32_e32 v8, s7
	v_add_co_u32_e32 v16, vcc, s6, v14
	v_addc_co_u32_e32 v17, vcc, v15, v8, vcc
	v_lshlrev_b64 v[8:9], 2, v[10:11]
	s_mov_b64 s[44:45], s[8:9]
	s_branch .LBB3_22
.LBB3_20:                               ;   in Loop: Header=BB3_22 Depth=2
	s_or_b64 exec, exec, s[6:7]
.LBB3_21:                               ;   in Loop: Header=BB3_22 Depth=2
	s_or_b64 exec, exec, s[60:61]
	s_mul_i32 s6, s48, s13
	s_mul_hi_u32 s7, s48, s12
	s_add_i32 s6, s7, s6
	s_mul_i32 s7, s49, s12
	s_add_i32 s7, s6, s7
	s_mul_i32 s6, s48, s12
	s_mul_i32 s48, s50, s15
	s_mul_hi_u32 s49, s50, s14
	s_add_i32 s48, s49, s48
	s_mul_i32 s49, s51, s14
	s_lshl_b64 s[6:7], s[6:7], 2
	s_add_i32 s49, s48, s49
	s_mul_i32 s48, s50, s14
	s_mul_i32 s50, s54, s17
	s_mul_hi_u32 s51, s54, s16
	v_mov_b32_e32 v10, s7
	v_add_co_u32_e32 v11, vcc, s6, v16
	s_add_i32 s50, s51, s50
	s_mul_i32 s51, s55, s16
	v_addc_co_u32_e32 v10, vcc, v17, v10, vcc
	s_lshl_b64 s[6:7], s[48:49], 2
	s_add_i32 s51, s50, s51
	s_mul_i32 s50, s54, s16
	v_mov_b32_e32 v12, s7
	v_add_co_u32_e32 v11, vcc, s6, v11
	v_addc_co_u32_e32 v12, vcc, v10, v12, vcc
	s_lshl_b64 s[6:7], s[50:51], 2
	v_mov_b32_e32 v13, s7
	v_add_co_u32_e32 v10, vcc, s6, v11
	v_addc_co_u32_e32 v11, vcc, v12, v13, vcc
	s_add_u32 s44, s44, 0xffff
	v_mov_b32_e32 v12, s18
	s_addc_u32 s45, s45, 0
	v_mov_b32_e32 v13, s19
	v_cmp_ge_i64_e32 vcc, s[44:45], v[12:13]
	s_waitcnt vmcnt(0)
	global_store_dword v[10:11], v18, off
	s_cbranch_vccnz .LBB3_17
.LBB3_22:                               ;   Parent Loop BB3_18 Depth=1
                                        ; =>  This Inner Loop Header: Depth=2
	s_or_b64 s[6:7], s[44:45], s[20:21]
	s_mov_b32 s59, s7
	s_cmp_lg_u64 s[58:59], 0
	s_cbranch_scc0 .LBB3_34
; %bb.23:                               ;   in Loop: Header=BB3_22 Depth=2
	s_ashr_i32 s6, s21, 31
	s_add_u32 s48, s20, s6
	s_mov_b32 s7, s6
	s_addc_u32 s49, s21, s6
	s_xor_b64 s[48:49], s[48:49], s[6:7]
	v_cvt_f32_u32_e32 v10, s48
	v_cvt_f32_u32_e32 v11, s49
	s_sub_u32 s54, 0, s48
	s_subb_u32 s55, 0, s49
	v_mac_f32_e32 v10, 0x4f800000, v11
	v_rcp_f32_e32 v10, v10
	v_mul_f32_e32 v10, 0x5f7ffffc, v10
	v_mul_f32_e32 v11, 0x2f800000, v10
	v_trunc_f32_e32 v11, v11
	v_mac_f32_e32 v10, 0xcf800000, v11
	v_cvt_u32_f32_e32 v11, v11
	v_cvt_u32_f32_e32 v10, v10
	v_readfirstlane_b32 s59, v11
	v_readfirstlane_b32 s50, v10
	s_mul_i32 s51, s54, s59
	s_mul_hi_u32 s61, s54, s50
	s_mul_i32 s60, s55, s50
	s_add_i32 s51, s61, s51
	s_add_i32 s51, s51, s60
	s_mul_i32 s67, s54, s50
	s_mul_i32 s61, s50, s51
	s_mul_hi_u32 s68, s50, s67
	s_mul_hi_u32 s60, s50, s51
	s_add_u32 s61, s68, s61
	s_addc_u32 s60, 0, s60
	s_mul_hi_u32 s69, s59, s67
	s_mul_i32 s67, s59, s67
	s_add_u32 s61, s61, s67
	s_mul_hi_u32 s68, s59, s51
	s_addc_u32 s60, s60, s69
	s_addc_u32 s61, s68, 0
	s_mul_i32 s51, s59, s51
	s_add_u32 s51, s60, s51
	s_addc_u32 s60, 0, s61
	s_add_u32 s61, s50, s51
	s_cselect_b64 s[50:51], -1, 0
	s_cmp_lg_u64 s[50:51], 0
	s_addc_u32 s59, s59, s60
	s_mul_i32 s50, s54, s59
	s_mul_hi_u32 s51, s54, s61
	s_add_i32 s50, s51, s50
	s_mul_i32 s55, s55, s61
	s_add_i32 s50, s50, s55
	s_mul_i32 s54, s54, s61
	s_mul_hi_u32 s55, s59, s54
	s_mul_i32 s60, s59, s54
	s_mul_i32 s68, s61, s50
	s_mul_hi_u32 s54, s61, s54
	s_mul_hi_u32 s67, s61, s50
	s_add_u32 s54, s54, s68
	s_addc_u32 s67, 0, s67
	s_add_u32 s54, s54, s60
	s_mul_hi_u32 s51, s59, s50
	s_addc_u32 s54, s67, s55
	s_addc_u32 s51, s51, 0
	s_mul_i32 s50, s59, s50
	s_add_u32 s50, s54, s50
	s_addc_u32 s54, 0, s51
	s_add_u32 s60, s61, s50
	s_cselect_b64 s[50:51], -1, 0
	s_cmp_lg_u64 s[50:51], 0
	s_addc_u32 s59, s59, s54
	s_ashr_i32 s50, s45, 31
	s_add_u32 s54, s44, s50
	s_mov_b32 s51, s50
	s_addc_u32 s55, s45, s50
	s_xor_b64 s[54:55], s[54:55], s[50:51]
	s_mul_i32 s67, s54, s59
	s_mul_hi_u32 s68, s54, s60
	s_mul_hi_u32 s61, s54, s59
	s_add_u32 s67, s68, s67
	s_addc_u32 s61, 0, s61
	s_mul_hi_u32 s69, s55, s60
	s_mul_i32 s60, s55, s60
	s_add_u32 s60, s67, s60
	s_mul_hi_u32 s68, s55, s59
	s_addc_u32 s60, s61, s69
	s_addc_u32 s61, s68, 0
	s_mul_i32 s59, s55, s59
	s_add_u32 s59, s60, s59
	s_addc_u32 s67, 0, s61
	s_mul_i32 s60, s48, s67
	s_mul_hi_u32 s61, s48, s59
	s_add_i32 s60, s61, s60
	s_mul_i32 s61, s49, s59
	s_add_i32 s70, s60, s61
	s_sub_i32 s68, s55, s70
	s_mul_i32 s60, s48, s59
	s_sub_u32 s54, s54, s60
	s_cselect_b64 s[60:61], -1, 0
	s_cmp_lg_u64 s[60:61], 0
	s_subb_u32 s71, s68, s49
	s_sub_u32 s72, s54, s48
	s_cselect_b64 s[68:69], -1, 0
	s_cmp_lg_u64 s[68:69], 0
	s_subb_u32 s68, s71, 0
	s_cmp_ge_u32 s68, s49
	s_cselect_b32 s69, -1, 0
	s_cmp_ge_u32 s72, s48
	s_cselect_b32 s71, -1, 0
	s_cmp_eq_u32 s68, s49
	s_cselect_b32 s68, s71, s69
	s_add_u32 s69, s59, 1
	s_addc_u32 s71, s67, 0
	s_add_u32 s72, s59, 2
	s_addc_u32 s73, s67, 0
	s_cmp_lg_u32 s68, 0
	s_cselect_b32 s68, s72, s69
	s_cselect_b32 s69, s73, s71
	s_cmp_lg_u64 s[60:61], 0
	s_subb_u32 s55, s55, s70
	s_cmp_ge_u32 s55, s49
	s_cselect_b32 s60, -1, 0
	s_cmp_ge_u32 s54, s48
	s_cselect_b32 s48, -1, 0
	s_cmp_eq_u32 s55, s49
	s_cselect_b32 s48, s48, s60
	s_cmp_lg_u32 s48, 0
	s_cselect_b32 s49, s69, s67
	s_cselect_b32 s48, s68, s59
	s_xor_b64 s[6:7], s[50:51], s[6:7]
	s_xor_b64 s[48:49], s[48:49], s[6:7]
	s_sub_u32 s48, s48, s6
	s_subb_u32 s49, s49, s7
	s_cbranch_execnz .LBB3_25
.LBB3_24:                               ;   in Loop: Header=BB3_22 Depth=2
	v_cvt_f32_u32_e32 v10, s20
	s_sub_i32 s6, 0, s20
	v_rcp_iflag_f32_e32 v10, v10
	v_mul_f32_e32 v10, 0x4f7ffffe, v10
	v_cvt_u32_f32_e32 v10, v10
	v_readfirstlane_b32 s7, v10
	s_mul_i32 s6, s6, s7
	s_mul_hi_u32 s6, s7, s6
	s_add_i32 s7, s7, s6
	s_mul_hi_u32 s6, s44, s7
	s_mul_i32 s48, s6, s20
	s_sub_i32 s48, s44, s48
	s_add_i32 s7, s6, 1
	s_sub_i32 s49, s48, s20
	s_cmp_ge_u32 s48, s20
	s_cselect_b32 s6, s7, s6
	s_cselect_b32 s48, s49, s48
	s_add_i32 s7, s6, 1
	s_cmp_ge_u32 s48, s20
	s_cselect_b32 s48, s7, s6
	s_mov_b32 s49, s58
.LBB3_25:                               ;   in Loop: Header=BB3_22 Depth=2
	s_mul_i32 s6, s65, s49
	s_mul_hi_u32 s7, s65, s48
	s_add_i32 s6, s7, s6
	s_mul_i32 s7, s66, s48
	s_add_i32 s7, s6, s7
	s_mul_i32 s6, s65, s48
	s_add_u32 s6, s44, s6
	s_addc_u32 s7, s45, s7
	s_or_b64 s[50:51], s[6:7], s[28:29]
	s_mov_b32 s59, s51
	s_cmp_lg_u64 s[58:59], 0
	s_cbranch_scc0 .LBB3_35
; %bb.26:                               ;   in Loop: Header=BB3_22 Depth=2
	s_ashr_i32 s50, s29, 31
	s_add_u32 s54, s28, s50
	s_mov_b32 s51, s50
	s_addc_u32 s55, s29, s50
	s_xor_b64 s[54:55], s[54:55], s[50:51]
	v_cvt_f32_u32_e32 v10, s54
	v_cvt_f32_u32_e32 v11, s55
	s_sub_u32 s59, 0, s54
	s_subb_u32 s67, 0, s55
	v_mac_f32_e32 v10, 0x4f800000, v11
	v_rcp_f32_e32 v10, v10
	v_mul_f32_e32 v10, 0x5f7ffffc, v10
	v_mul_f32_e32 v11, 0x2f800000, v10
	v_trunc_f32_e32 v11, v11
	v_mac_f32_e32 v10, 0xcf800000, v11
	v_cvt_u32_f32_e32 v11, v11
	v_cvt_u32_f32_e32 v10, v10
	v_readfirstlane_b32 s68, v11
	v_readfirstlane_b32 s60, v10
	s_mul_i32 s61, s59, s68
	s_mul_hi_u32 s70, s59, s60
	s_mul_i32 s69, s67, s60
	s_add_i32 s61, s70, s61
	s_add_i32 s61, s61, s69
	s_mul_i32 s71, s59, s60
	s_mul_i32 s70, s60, s61
	s_mul_hi_u32 s72, s60, s71
	s_mul_hi_u32 s69, s60, s61
	s_add_u32 s70, s72, s70
	s_addc_u32 s69, 0, s69
	s_mul_hi_u32 s73, s68, s71
	s_mul_i32 s71, s68, s71
	s_add_u32 s70, s70, s71
	s_mul_hi_u32 s72, s68, s61
	s_addc_u32 s69, s69, s73
	s_addc_u32 s70, s72, 0
	s_mul_i32 s61, s68, s61
	s_add_u32 s61, s69, s61
	s_addc_u32 s69, 0, s70
	s_add_u32 s70, s60, s61
	s_cselect_b64 s[60:61], -1, 0
	s_cmp_lg_u64 s[60:61], 0
	s_addc_u32 s68, s68, s69
	s_mul_i32 s60, s59, s68
	s_mul_hi_u32 s61, s59, s70
	s_add_i32 s60, s61, s60
	s_mul_i32 s67, s67, s70
	s_add_i32 s60, s60, s67
	s_mul_i32 s59, s59, s70
	s_mul_hi_u32 s67, s68, s59
	s_mul_i32 s69, s68, s59
	s_mul_i32 s72, s70, s60
	s_mul_hi_u32 s59, s70, s59
	s_mul_hi_u32 s71, s70, s60
	s_add_u32 s59, s59, s72
	s_addc_u32 s71, 0, s71
	s_add_u32 s59, s59, s69
	s_mul_hi_u32 s61, s68, s60
	s_addc_u32 s59, s71, s67
	s_addc_u32 s61, s61, 0
	s_mul_i32 s60, s68, s60
	s_add_u32 s59, s59, s60
	s_addc_u32 s67, 0, s61
	s_add_u32 s59, s70, s59
	s_cselect_b64 s[60:61], -1, 0
	s_cmp_lg_u64 s[60:61], 0
	s_addc_u32 s67, s68, s67
	s_ashr_i32 s60, s7, 31
	s_add_u32 s68, s6, s60
	s_mov_b32 s61, s60
	s_addc_u32 s69, s7, s60
	s_xor_b64 s[68:69], s[68:69], s[60:61]
	s_mul_i32 s70, s68, s67
	s_mul_hi_u32 s71, s68, s59
	s_mul_hi_u32 s7, s68, s67
	s_add_u32 s70, s71, s70
	s_addc_u32 s7, 0, s7
	s_mul_hi_u32 s72, s69, s59
	s_mul_i32 s59, s69, s59
	s_add_u32 s59, s70, s59
	s_mul_hi_u32 s71, s69, s67
	s_addc_u32 s7, s7, s72
	s_addc_u32 s59, s71, 0
	s_mul_i32 s67, s69, s67
	s_add_u32 s7, s7, s67
	s_addc_u32 s59, 0, s59
	s_mul_i32 s67, s54, s59
	s_mul_hi_u32 s70, s54, s7
	s_add_i32 s67, s70, s67
	s_mul_i32 s70, s55, s7
	s_add_i32 s67, s67, s70
	s_sub_i32 s72, s69, s67
	s_mul_i32 s70, s54, s7
	s_sub_u32 s68, s68, s70
	s_cselect_b64 s[70:71], -1, 0
	s_cmp_lg_u64 s[70:71], 0
	s_subb_u32 s74, s72, s55
	s_sub_u32 s75, s68, s54
	s_cselect_b64 s[72:73], -1, 0
	s_cmp_lg_u64 s[72:73], 0
	s_subb_u32 s72, s74, 0
	s_cmp_ge_u32 s72, s55
	s_cselect_b32 s73, -1, 0
	s_cmp_ge_u32 s75, s54
	s_cselect_b32 s74, -1, 0
	s_cmp_eq_u32 s72, s55
	s_cselect_b32 s72, s74, s73
	s_add_u32 s73, s7, 1
	s_addc_u32 s74, s59, 0
	s_add_u32 s75, s7, 2
	s_addc_u32 s76, s59, 0
	s_cmp_lg_u32 s72, 0
	s_cselect_b32 s72, s75, s73
	s_cselect_b32 s73, s76, s74
	s_cmp_lg_u64 s[70:71], 0
	s_subb_u32 s67, s69, s67
	s_cmp_ge_u32 s67, s55
	s_cselect_b32 s69, -1, 0
	s_cmp_ge_u32 s68, s54
	s_cselect_b32 s54, -1, 0
	s_cmp_eq_u32 s67, s55
	s_cselect_b32 s54, s54, s69
	s_cmp_lg_u32 s54, 0
	s_cselect_b32 s55, s73, s59
	s_cselect_b32 s54, s72, s7
	s_xor_b64 s[50:51], s[60:61], s[50:51]
	s_xor_b64 s[54:55], s[54:55], s[50:51]
	s_sub_u32 s50, s54, s50
	s_subb_u32 s51, s55, s51
	v_cvt_f32_u32_e32 v10, s28
	s_cbranch_execnz .LBB3_28
.LBB3_27:                               ;   in Loop: Header=BB3_22 Depth=2
	v_rcp_iflag_f32_e32 v11, v10
	s_sub_i32 s7, 0, s28
	v_mul_f32_e32 v11, 0x4f7ffffe, v11
	v_cvt_u32_f32_e32 v11, v11
	v_readfirstlane_b32 s50, v11
	s_mul_i32 s7, s7, s50
	s_mul_hi_u32 s7, s50, s7
	s_add_i32 s50, s50, s7
	s_mul_hi_u32 s7, s6, s50
	s_mul_i32 s51, s7, s28
	s_sub_i32 s6, s6, s51
	s_add_i32 s50, s7, 1
	s_sub_i32 s51, s6, s28
	s_cmp_ge_u32 s6, s28
	s_cselect_b32 s7, s50, s7
	s_cselect_b32 s6, s51, s6
	s_add_i32 s50, s7, 1
	s_cmp_ge_u32 s6, s28
	s_cselect_b32 s50, s50, s7
	s_mov_b32 s51, s58
.LBB3_28:                               ;   in Loop: Header=BB3_22 Depth=2
	s_or_b64 s[6:7], s[44:45], s[28:29]
	s_mov_b32 s59, s7
	s_cmp_lg_u64 s[58:59], 0
	s_cbranch_scc0 .LBB3_36
; %bb.29:                               ;   in Loop: Header=BB3_22 Depth=2
	s_ashr_i32 s6, s29, 31
	s_add_u32 s54, s28, s6
	s_mov_b32 s7, s6
	s_addc_u32 s55, s29, s6
	s_xor_b64 s[6:7], s[54:55], s[6:7]
	v_cvt_f32_u32_e32 v11, s6
	v_cvt_f32_u32_e32 v12, s7
	s_sub_u32 s59, 0, s6
	s_subb_u32 s60, 0, s7
	v_mac_f32_e32 v11, 0x4f800000, v12
	v_rcp_f32_e32 v11, v11
	v_mul_f32_e32 v11, 0x5f7ffffc, v11
	v_mul_f32_e32 v12, 0x2f800000, v11
	v_trunc_f32_e32 v12, v12
	v_mac_f32_e32 v11, 0xcf800000, v12
	v_cvt_u32_f32_e32 v12, v12
	v_cvt_u32_f32_e32 v11, v11
	v_readfirstlane_b32 s61, v12
	v_readfirstlane_b32 s54, v11
	s_mul_i32 s55, s59, s61
	s_mul_hi_u32 s68, s59, s54
	s_mul_i32 s67, s60, s54
	s_add_i32 s55, s68, s55
	s_add_i32 s55, s55, s67
	s_mul_i32 s69, s59, s54
	s_mul_i32 s68, s54, s55
	s_mul_hi_u32 s70, s54, s69
	s_mul_hi_u32 s67, s54, s55
	s_add_u32 s68, s70, s68
	s_addc_u32 s67, 0, s67
	s_mul_hi_u32 s71, s61, s69
	s_mul_i32 s69, s61, s69
	s_add_u32 s68, s68, s69
	s_mul_hi_u32 s70, s61, s55
	s_addc_u32 s67, s67, s71
	s_addc_u32 s68, s70, 0
	s_mul_i32 s55, s61, s55
	s_add_u32 s55, s67, s55
	s_addc_u32 s67, 0, s68
	s_add_u32 s68, s54, s55
	s_cselect_b64 s[54:55], -1, 0
	s_cmp_lg_u64 s[54:55], 0
	s_addc_u32 s61, s61, s67
	s_mul_i32 s54, s59, s61
	s_mul_hi_u32 s55, s59, s68
	s_add_i32 s54, s55, s54
	s_mul_i32 s60, s60, s68
	s_add_i32 s54, s54, s60
	s_mul_i32 s59, s59, s68
	s_mul_hi_u32 s60, s61, s59
	s_mul_i32 s67, s61, s59
	s_mul_i32 s70, s68, s54
	s_mul_hi_u32 s59, s68, s59
	s_mul_hi_u32 s69, s68, s54
	s_add_u32 s59, s59, s70
	s_addc_u32 s69, 0, s69
	s_add_u32 s59, s59, s67
	s_mul_hi_u32 s55, s61, s54
	s_addc_u32 s59, s69, s60
	s_addc_u32 s55, s55, 0
	s_mul_i32 s54, s61, s54
	s_add_u32 s54, s59, s54
	s_addc_u32 s59, 0, s55
	s_add_u32 s67, s68, s54
	s_cselect_b64 s[54:55], -1, 0
	s_cmp_lg_u64 s[54:55], 0
	s_addc_u32 s59, s61, s59
	s_ashr_i32 s60, s45, 31
	s_add_u32 s54, s44, s60
	s_mov_b32 s61, s60
	s_addc_u32 s55, s45, s60
	s_xor_b64 s[54:55], s[54:55], s[60:61]
	s_mul_i32 s69, s54, s59
	s_mul_hi_u32 s70, s54, s67
	s_mul_hi_u32 s68, s54, s59
	s_add_u32 s69, s70, s69
	s_addc_u32 s68, 0, s68
	s_mul_hi_u32 s71, s55, s67
	s_mul_i32 s67, s55, s67
	s_add_u32 s67, s69, s67
	s_mul_hi_u32 s70, s55, s59
	s_addc_u32 s67, s68, s71
	s_addc_u32 s68, s70, 0
	s_mul_i32 s59, s55, s59
	s_add_u32 s59, s67, s59
	s_addc_u32 s67, 0, s68
	s_mul_i32 s67, s6, s67
	s_mul_hi_u32 s68, s6, s59
	s_add_i32 s67, s68, s67
	s_mul_i32 s68, s7, s59
	s_add_i32 s67, s67, s68
	s_sub_i32 s70, s55, s67
	s_mul_i32 s59, s6, s59
	s_sub_u32 s54, s54, s59
	s_cselect_b64 s[68:69], -1, 0
	s_cmp_lg_u64 s[68:69], 0
	s_subb_u32 s59, s70, s7
	s_sub_u32 s72, s54, s6
	s_cselect_b64 s[70:71], -1, 0
	s_cmp_lg_u64 s[70:71], 0
	s_subb_u32 s73, s59, 0
	s_cmp_ge_u32 s73, s7
	s_cselect_b32 s74, -1, 0
	s_cmp_ge_u32 s72, s6
	s_cselect_b32 s75, -1, 0
	s_cmp_eq_u32 s73, s7
	s_cselect_b32 s74, s75, s74
	s_cmp_lg_u64 s[70:71], 0
	s_subb_u32 s59, s59, s7
	s_sub_u32 s75, s72, s6
	s_cselect_b64 s[70:71], -1, 0
	s_cmp_lg_u64 s[70:71], 0
	s_subb_u32 s59, s59, 0
	s_cmp_lg_u32 s74, 0
	s_cselect_b32 s70, s75, s72
	s_cselect_b32 s59, s59, s73
	s_cmp_lg_u64 s[68:69], 0
	s_subb_u32 s55, s55, s67
	s_cmp_ge_u32 s55, s7
	s_cselect_b32 s67, -1, 0
	s_cmp_ge_u32 s54, s6
	s_cselect_b32 s6, -1, 0
	s_cmp_eq_u32 s55, s7
	s_cselect_b32 s6, s6, s67
	s_cmp_lg_u32 s6, 0
	s_cselect_b32 s7, s59, s55
	s_cselect_b32 s6, s70, s54
	s_xor_b64 s[6:7], s[6:7], s[60:61]
	s_sub_u32 s54, s6, s60
	s_subb_u32 s55, s7, s60
	s_cbranch_execnz .LBB3_31
.LBB3_30:                               ;   in Loop: Header=BB3_22 Depth=2
	v_rcp_iflag_f32_e32 v10, v10
	s_sub_i32 s6, 0, s28
	s_mov_b32 s55, s58
	v_mul_f32_e32 v10, 0x4f7ffffe, v10
	v_cvt_u32_f32_e32 v10, v10
	v_readfirstlane_b32 s7, v10
	s_mul_i32 s6, s6, s7
	s_mul_hi_u32 s6, s7, s6
	s_add_i32 s7, s7, s6
	s_mul_hi_u32 s6, s44, s7
	s_mul_i32 s6, s6, s28
	s_sub_i32 s6, s44, s6
	s_sub_i32 s7, s6, s28
	s_cmp_ge_u32 s6, s28
	s_cselect_b32 s6, s7, s6
	s_sub_i32 s7, s6, s28
	s_cmp_ge_u32 s6, s28
	s_cselect_b32 s54, s7, s6
.LBB3_31:                               ;   in Loop: Header=BB3_22 Depth=2
	v_mov_b32_e32 v10, s63
	v_mad_u64_u32 v[10:11], s[6:7], s54, v10, v[4:5]
	s_mul_i32 s6, s55, s63
	s_mul_i32 s7, s54, s47
	s_add_i32 s7, s7, s6
	v_add_u32_e32 v11, s7, v11
	v_cmp_gt_i64_e32 vcc, 0, v[10:11]
	v_cmp_le_i64_e64 s[6:7], s[40:41], v[10:11]
	v_mov_b32_e32 v18, 0
	s_or_b64 s[6:7], vcc, s[6:7]
	s_nor_b64 s[6:7], s[6:7], s[2:3]
	s_and_saveexec_b64 s[60:61], s[6:7]
	s_cbranch_execz .LBB3_21
; %bb.32:                               ;   in Loop: Header=BB3_22 Depth=2
	v_mov_b32_e32 v12, s46
	v_mad_u64_u32 v[12:13], s[6:7], s50, v12, v[6:7]
	s_mul_i32 s6, s51, s46
	s_mul_i32 s7, s50, s64
	s_add_i32 s7, s7, s6
	v_add_u32_e32 v13, s7, v13
	v_cmp_lt_i64_e32 vcc, -1, v[12:13]
	v_cmp_gt_i64_e64 s[6:7], s[38:39], v[12:13]
	v_mov_b32_e32 v18, 0
	s_and_b64 s[6:7], vcc, s[6:7]
	s_and_b64 s[68:69], s[4:5], s[6:7]
	s_and_saveexec_b64 s[6:7], s[68:69]
	s_cbranch_execz .LBB3_20
; %bb.33:                               ;   in Loop: Header=BB3_22 Depth=2
	v_mov_b32_e32 v18, s36
	v_mad_u64_u32 v[18:19], s[68:69], s48, v18, v[0:1]
	s_mul_i32 s59, s49, s36
	s_mul_i32 s67, s48, s37
	s_add_i32 s67, s67, s59
	v_add_u32_e32 v19, s67, v19
	v_mul_lo_u32 v20, v19, s22
	v_mul_lo_u32 v21, v18, s23
	v_mad_u64_u32 v[18:19], s[68:69], v18, s22, 0
	v_mul_lo_u32 v22, v13, s24
	v_mul_lo_u32 v23, v12, s25
	v_mad_u64_u32 v[12:13], s[68:69], v12, s24, 0
	;; [unrolled: 3-line block ×3, first 2 shown]
	v_add3_u32 v19, v19, v21, v20
	v_lshlrev_b64 v[18:19], 2, v[18:19]
	v_add3_u32 v13, v13, v23, v22
	v_mov_b32_e32 v20, s53
	v_add_co_u32_e32 v18, vcc, s52, v18
	v_lshlrev_b64 v[12:13], 2, v[12:13]
	v_add3_u32 v11, v11, v25, v24
	v_addc_co_u32_e32 v19, vcc, v20, v19, vcc
	v_add_co_u32_e32 v12, vcc, v18, v12
	v_lshlrev_b64 v[10:11], 2, v[10:11]
	v_addc_co_u32_e32 v13, vcc, v19, v13, vcc
	v_add_co_u32_e32 v10, vcc, v12, v10
	v_addc_co_u32_e32 v11, vcc, v13, v11, vcc
	v_add_co_u32_e32 v10, vcc, v10, v8
	v_addc_co_u32_e32 v11, vcc, v11, v9, vcc
	global_load_dword v18, v[10:11], off
	s_branch .LBB3_20
.LBB3_34:                               ;   in Loop: Header=BB3_22 Depth=2
                                        ; implicit-def: $sgpr48_sgpr49
	s_branch .LBB3_24
.LBB3_35:                               ;   in Loop: Header=BB3_22 Depth=2
                                        ; implicit-def: $sgpr50_sgpr51
	v_cvt_f32_u32_e32 v10, s28
	s_branch .LBB3_27
.LBB3_36:                               ;   in Loop: Header=BB3_22 Depth=2
                                        ; implicit-def: $sgpr54_sgpr55
	s_branch .LBB3_30
.LBB3_37:
	s_endpgm
.LBB3_38:
                                        ; implicit-def: $vgpr0_vgpr1
	s_branch .LBB3_3
.LBB3_39:
                                        ; implicit-def: $vgpr8_vgpr9
	v_cvt_f32_u32_e32 v3, s6
	s_branch .LBB3_7
	.section	.rodata,"a",@progbits
	.p2align	6, 0x0
	.amdhsa_kernel _ZL16im2col_3d_kernelIfEvPKfPT_llllllllllllllllllllllllllllliiiiiiiii
		.amdhsa_group_segment_fixed_size 0
		.amdhsa_private_segment_fixed_size 0
		.amdhsa_kernarg_size 544
		.amdhsa_user_sgpr_count 6
		.amdhsa_user_sgpr_private_segment_buffer 1
		.amdhsa_user_sgpr_dispatch_ptr 0
		.amdhsa_user_sgpr_queue_ptr 0
		.amdhsa_user_sgpr_kernarg_segment_ptr 1
		.amdhsa_user_sgpr_dispatch_id 0
		.amdhsa_user_sgpr_flat_scratch_init 0
		.amdhsa_user_sgpr_private_segment_size 0
		.amdhsa_uses_dynamic_stack 0
		.amdhsa_system_sgpr_private_segment_wavefront_offset 0
		.amdhsa_system_sgpr_workgroup_id_x 1
		.amdhsa_system_sgpr_workgroup_id_y 1
		.amdhsa_system_sgpr_workgroup_id_z 1
		.amdhsa_system_sgpr_workgroup_info 0
		.amdhsa_system_vgpr_workitem_id 0
		.amdhsa_next_free_vgpr 26
		.amdhsa_next_free_sgpr 77
		.amdhsa_reserve_vcc 1
		.amdhsa_reserve_flat_scratch 0
		.amdhsa_float_round_mode_32 0
		.amdhsa_float_round_mode_16_64 0
		.amdhsa_float_denorm_mode_32 3
		.amdhsa_float_denorm_mode_16_64 3
		.amdhsa_dx10_clamp 1
		.amdhsa_ieee_mode 1
		.amdhsa_fp16_overflow 0
		.amdhsa_exception_fp_ieee_invalid_op 0
		.amdhsa_exception_fp_denorm_src 0
		.amdhsa_exception_fp_ieee_div_zero 0
		.amdhsa_exception_fp_ieee_overflow 0
		.amdhsa_exception_fp_ieee_underflow 0
		.amdhsa_exception_fp_ieee_inexact 0
		.amdhsa_exception_int_div_zero 0
	.end_amdhsa_kernel
	.section	.text._ZL16im2col_3d_kernelIfEvPKfPT_llllllllllllllllllllllllllllliiiiiiiii,"axG",@progbits,_ZL16im2col_3d_kernelIfEvPKfPT_llllllllllllllllllllllllllllliiiiiiiii,comdat
.Lfunc_end3:
	.size	_ZL16im2col_3d_kernelIfEvPKfPT_llllllllllllllllllllllllllllliiiiiiiii, .Lfunc_end3-_ZL16im2col_3d_kernelIfEvPKfPT_llllllllllllllllllllllllllllliiiiiiiii
                                        ; -- End function
	.set _ZL16im2col_3d_kernelIfEvPKfPT_llllllllllllllllllllllllllllliiiiiiiii.num_vgpr, 26
	.set _ZL16im2col_3d_kernelIfEvPKfPT_llllllllllllllllllllllllllllliiiiiiiii.num_agpr, 0
	.set _ZL16im2col_3d_kernelIfEvPKfPT_llllllllllllllllllllllllllllliiiiiiiii.numbered_sgpr, 77
	.set _ZL16im2col_3d_kernelIfEvPKfPT_llllllllllllllllllllllllllllliiiiiiiii.num_named_barrier, 0
	.set _ZL16im2col_3d_kernelIfEvPKfPT_llllllllllllllllllllllllllllliiiiiiiii.private_seg_size, 0
	.set _ZL16im2col_3d_kernelIfEvPKfPT_llllllllllllllllllllllllllllliiiiiiiii.uses_vcc, 1
	.set _ZL16im2col_3d_kernelIfEvPKfPT_llllllllllllllllllllllllllllliiiiiiiii.uses_flat_scratch, 0
	.set _ZL16im2col_3d_kernelIfEvPKfPT_llllllllllllllllllllllllllllliiiiiiiii.has_dyn_sized_stack, 0
	.set _ZL16im2col_3d_kernelIfEvPKfPT_llllllllllllllllllllllllllllliiiiiiiii.has_recursion, 0
	.set _ZL16im2col_3d_kernelIfEvPKfPT_llllllllllllllllllllllllllllliiiiiiiii.has_indirect_call, 0
	.section	.AMDGPU.csdata,"",@progbits
; Kernel info:
; codeLenInByte = 6108
; TotalNumSgprs: 81
; NumVgprs: 26
; ScratchSize: 0
; MemoryBound: 0
; FloatMode: 240
; IeeeMode: 1
; LDSByteSize: 0 bytes/workgroup (compile time only)
; SGPRBlocks: 10
; VGPRBlocks: 6
; NumSGPRsForWavesPerEU: 81
; NumVGPRsForWavesPerEU: 26
; Occupancy: 9
; WaveLimiterHint : 1
; COMPUTE_PGM_RSRC2:SCRATCH_EN: 0
; COMPUTE_PGM_RSRC2:USER_SGPR: 6
; COMPUTE_PGM_RSRC2:TRAP_HANDLER: 0
; COMPUTE_PGM_RSRC2:TGID_X_EN: 1
; COMPUTE_PGM_RSRC2:TGID_Y_EN: 1
; COMPUTE_PGM_RSRC2:TGID_Z_EN: 1
; COMPUTE_PGM_RSRC2:TIDIG_COMP_CNT: 0
	.section	.AMDGPU.gpr_maximums,"",@progbits
	.set amdgpu.max_num_vgpr, 0
	.set amdgpu.max_num_agpr, 0
	.set amdgpu.max_num_sgpr, 0
	.section	.AMDGPU.csdata,"",@progbits
	.type	__hip_cuid_36b58247a2df3083,@object ; @__hip_cuid_36b58247a2df3083
	.section	.bss,"aw",@nobits
	.globl	__hip_cuid_36b58247a2df3083
__hip_cuid_36b58247a2df3083:
	.byte	0                               ; 0x0
	.size	__hip_cuid_36b58247a2df3083, 1

	.ident	"AMD clang version 22.0.0git (https://github.com/RadeonOpenCompute/llvm-project roc-7.2.4 26084 f58b06dce1f9c15707c5f808fd002e18c2accf7e)"
	.section	".note.GNU-stack","",@progbits
	.addrsig
	.addrsig_sym __hip_cuid_36b58247a2df3083
	.amdgpu_metadata
---
amdhsa.kernels:
  - .args:
      - .address_space:  global
        .offset:         0
        .size:           8
        .value_kind:     global_buffer
      - .address_space:  global
        .offset:         8
        .size:           8
        .value_kind:     global_buffer
      - .offset:         16
        .size:           8
        .value_kind:     by_value
      - .offset:         24
        .size:           8
        .value_kind:     by_value
      - .offset:         32
        .size:           8
        .value_kind:     by_value
      - .offset:         40
        .size:           8
        .value_kind:     by_value
      - .offset:         48
        .size:           8
        .value_kind:     by_value
      - .offset:         56
        .size:           8
        .value_kind:     by_value
      - .offset:         64
        .size:           8
        .value_kind:     by_value
      - .offset:         72
        .size:           8
        .value_kind:     by_value
      - .offset:         80
        .size:           8
        .value_kind:     by_value
      - .offset:         88
        .size:           8
        .value_kind:     by_value
      - .offset:         96
        .size:           8
        .value_kind:     by_value
      - .offset:         104
        .size:           8
        .value_kind:     by_value
      - .offset:         112
        .size:           4
        .value_kind:     by_value
      - .offset:         116
        .size:           4
        .value_kind:     by_value
      - .offset:         120
        .size:           4
        .value_kind:     by_value
      - .offset:         124
        .size:           4
        .value_kind:     by_value
      - .offset:         128
        .size:           4
        .value_kind:     by_value
      - .offset:         132
        .size:           4
        .value_kind:     by_value
      - .offset:         136
        .size:           4
        .value_kind:     hidden_block_count_x
      - .offset:         140
        .size:           4
        .value_kind:     hidden_block_count_y
      - .offset:         144
        .size:           4
        .value_kind:     hidden_block_count_z
      - .offset:         148
        .size:           2
        .value_kind:     hidden_group_size_x
      - .offset:         150
        .size:           2
        .value_kind:     hidden_group_size_y
      - .offset:         152
        .size:           2
        .value_kind:     hidden_group_size_z
      - .offset:         154
        .size:           2
        .value_kind:     hidden_remainder_x
      - .offset:         156
        .size:           2
        .value_kind:     hidden_remainder_y
      - .offset:         158
        .size:           2
        .value_kind:     hidden_remainder_z
      - .offset:         176
        .size:           8
        .value_kind:     hidden_global_offset_x
      - .offset:         184
        .size:           8
        .value_kind:     hidden_global_offset_y
      - .offset:         192
        .size:           8
        .value_kind:     hidden_global_offset_z
      - .offset:         200
        .size:           2
        .value_kind:     hidden_grid_dims
    .group_segment_fixed_size: 0
    .kernarg_segment_align: 8
    .kernarg_segment_size: 392
    .language:       OpenCL C
    .language_version:
      - 2
      - 0
    .max_flat_workgroup_size: 1024
    .name:           _ZL13im2col_kernelI6__halfEvPKfPT_lllllllllllliiiiii
    .private_segment_fixed_size: 0
    .sgpr_count:     56
    .sgpr_spill_count: 0
    .symbol:         _ZL13im2col_kernelI6__halfEvPKfPT_lllllllllllliiiiii.kd
    .uniform_work_group_size: 1
    .uses_dynamic_stack: false
    .vgpr_count:     17
    .vgpr_spill_count: 0
    .wavefront_size: 64
  - .args:
      - .address_space:  global
        .offset:         0
        .size:           8
        .value_kind:     global_buffer
      - .address_space:  global
        .offset:         8
        .size:           8
        .value_kind:     global_buffer
      - .offset:         16
        .size:           8
        .value_kind:     by_value
      - .offset:         24
        .size:           8
        .value_kind:     by_value
      - .offset:         32
        .size:           8
        .value_kind:     by_value
      - .offset:         40
        .size:           8
        .value_kind:     by_value
      - .offset:         48
        .size:           8
        .value_kind:     by_value
      - .offset:         56
        .size:           8
        .value_kind:     by_value
      - .offset:         64
        .size:           8
        .value_kind:     by_value
      - .offset:         72
        .size:           8
        .value_kind:     by_value
      - .offset:         80
        .size:           8
        .value_kind:     by_value
      - .offset:         88
        .size:           8
        .value_kind:     by_value
      - .offset:         96
        .size:           8
        .value_kind:     by_value
      - .offset:         104
        .size:           8
        .value_kind:     by_value
      - .offset:         112
        .size:           4
        .value_kind:     by_value
      - .offset:         116
        .size:           4
        .value_kind:     by_value
      - .offset:         120
        .size:           4
        .value_kind:     by_value
      - .offset:         124
        .size:           4
        .value_kind:     by_value
      - .offset:         128
        .size:           4
        .value_kind:     by_value
      - .offset:         132
        .size:           4
        .value_kind:     by_value
      - .offset:         136
        .size:           4
        .value_kind:     hidden_block_count_x
      - .offset:         140
        .size:           4
        .value_kind:     hidden_block_count_y
      - .offset:         144
        .size:           4
        .value_kind:     hidden_block_count_z
      - .offset:         148
        .size:           2
        .value_kind:     hidden_group_size_x
      - .offset:         150
        .size:           2
        .value_kind:     hidden_group_size_y
      - .offset:         152
        .size:           2
        .value_kind:     hidden_group_size_z
      - .offset:         154
        .size:           2
        .value_kind:     hidden_remainder_x
      - .offset:         156
        .size:           2
        .value_kind:     hidden_remainder_y
      - .offset:         158
        .size:           2
        .value_kind:     hidden_remainder_z
      - .offset:         176
        .size:           8
        .value_kind:     hidden_global_offset_x
      - .offset:         184
        .size:           8
        .value_kind:     hidden_global_offset_y
      - .offset:         192
        .size:           8
        .value_kind:     hidden_global_offset_z
      - .offset:         200
        .size:           2
        .value_kind:     hidden_grid_dims
    .group_segment_fixed_size: 0
    .kernarg_segment_align: 8
    .kernarg_segment_size: 392
    .language:       OpenCL C
    .language_version:
      - 2
      - 0
    .max_flat_workgroup_size: 1024
    .name:           _ZL13im2col_kernelIfEvPKfPT_lllllllllllliiiiii
    .private_segment_fixed_size: 0
    .sgpr_count:     56
    .sgpr_spill_count: 0
    .symbol:         _ZL13im2col_kernelIfEvPKfPT_lllllllllllliiiiii.kd
    .uniform_work_group_size: 1
    .uses_dynamic_stack: false
    .vgpr_count:     17
    .vgpr_spill_count: 0
    .wavefront_size: 64
  - .args:
      - .address_space:  global
        .offset:         0
        .size:           8
        .value_kind:     global_buffer
      - .address_space:  global
        .offset:         8
        .size:           8
        .value_kind:     global_buffer
      - .offset:         16
        .size:           8
        .value_kind:     by_value
      - .offset:         24
        .size:           8
        .value_kind:     by_value
      - .offset:         32
        .size:           8
        .value_kind:     by_value
      - .offset:         40
        .size:           8
        .value_kind:     by_value
      - .offset:         48
        .size:           8
        .value_kind:     by_value
      - .offset:         56
        .size:           8
        .value_kind:     by_value
      - .offset:         64
        .size:           8
        .value_kind:     by_value
      - .offset:         72
        .size:           8
        .value_kind:     by_value
      - .offset:         80
        .size:           8
        .value_kind:     by_value
      - .offset:         88
        .size:           8
        .value_kind:     by_value
      - .offset:         96
        .size:           8
        .value_kind:     by_value
      - .offset:         104
        .size:           8
        .value_kind:     by_value
      - .offset:         112
        .size:           8
        .value_kind:     by_value
      - .offset:         120
        .size:           8
        .value_kind:     by_value
      - .offset:         128
        .size:           8
        .value_kind:     by_value
      - .offset:         136
        .size:           8
        .value_kind:     by_value
      - .offset:         144
        .size:           8
        .value_kind:     by_value
      - .offset:         152
        .size:           8
        .value_kind:     by_value
      - .offset:         160
        .size:           8
        .value_kind:     by_value
      - .offset:         168
        .size:           8
        .value_kind:     by_value
      - .offset:         176
        .size:           8
        .value_kind:     by_value
      - .offset:         184
        .size:           8
        .value_kind:     by_value
      - .offset:         192
        .size:           8
        .value_kind:     by_value
      - .offset:         200
        .size:           8
        .value_kind:     by_value
      - .offset:         208
        .size:           8
        .value_kind:     by_value
      - .offset:         216
        .size:           8
        .value_kind:     by_value
      - .offset:         224
        .size:           8
        .value_kind:     by_value
      - .offset:         232
        .size:           8
        .value_kind:     by_value
      - .offset:         240
        .size:           8
        .value_kind:     by_value
      - .offset:         248
        .size:           4
        .value_kind:     by_value
      - .offset:         252
        .size:           4
        .value_kind:     by_value
      - .offset:         256
        .size:           4
        .value_kind:     by_value
      - .offset:         260
        .size:           4
        .value_kind:     by_value
      - .offset:         264
        .size:           4
        .value_kind:     by_value
      - .offset:         268
        .size:           4
        .value_kind:     by_value
      - .offset:         272
        .size:           4
        .value_kind:     by_value
      - .offset:         276
        .size:           4
        .value_kind:     by_value
      - .offset:         280
        .size:           4
        .value_kind:     by_value
      - .offset:         288
        .size:           4
        .value_kind:     hidden_block_count_x
      - .offset:         292
        .size:           4
        .value_kind:     hidden_block_count_y
      - .offset:         296
        .size:           4
        .value_kind:     hidden_block_count_z
      - .offset:         300
        .size:           2
        .value_kind:     hidden_group_size_x
      - .offset:         302
        .size:           2
        .value_kind:     hidden_group_size_y
      - .offset:         304
        .size:           2
        .value_kind:     hidden_group_size_z
      - .offset:         306
        .size:           2
        .value_kind:     hidden_remainder_x
      - .offset:         308
        .size:           2
        .value_kind:     hidden_remainder_y
      - .offset:         310
        .size:           2
        .value_kind:     hidden_remainder_z
      - .offset:         328
        .size:           8
        .value_kind:     hidden_global_offset_x
      - .offset:         336
        .size:           8
        .value_kind:     hidden_global_offset_y
      - .offset:         344
        .size:           8
        .value_kind:     hidden_global_offset_z
      - .offset:         352
        .size:           2
        .value_kind:     hidden_grid_dims
    .group_segment_fixed_size: 0
    .kernarg_segment_align: 8
    .kernarg_segment_size: 544
    .language:       OpenCL C
    .language_version:
      - 2
      - 0
    .max_flat_workgroup_size: 1024
    .name:           _ZL16im2col_3d_kernelI6__halfEvPKfPT_llllllllllllllllllllllllllllliiiiiiiii
    .private_segment_fixed_size: 0
    .sgpr_count:     83
    .sgpr_spill_count: 0
    .symbol:         _ZL16im2col_3d_kernelI6__halfEvPKfPT_llllllllllllllllllllllllllllliiiiiiiii.kd
    .uniform_work_group_size: 1
    .uses_dynamic_stack: false
    .vgpr_count:     29
    .vgpr_spill_count: 0
    .wavefront_size: 64
  - .args:
      - .address_space:  global
        .offset:         0
        .size:           8
        .value_kind:     global_buffer
      - .address_space:  global
        .offset:         8
        .size:           8
        .value_kind:     global_buffer
      - .offset:         16
        .size:           8
        .value_kind:     by_value
      - .offset:         24
        .size:           8
        .value_kind:     by_value
      - .offset:         32
        .size:           8
        .value_kind:     by_value
      - .offset:         40
        .size:           8
        .value_kind:     by_value
      - .offset:         48
        .size:           8
        .value_kind:     by_value
      - .offset:         56
        .size:           8
        .value_kind:     by_value
      - .offset:         64
        .size:           8
        .value_kind:     by_value
      - .offset:         72
        .size:           8
        .value_kind:     by_value
      - .offset:         80
        .size:           8
        .value_kind:     by_value
      - .offset:         88
        .size:           8
        .value_kind:     by_value
      - .offset:         96
        .size:           8
        .value_kind:     by_value
      - .offset:         104
        .size:           8
        .value_kind:     by_value
      - .offset:         112
        .size:           8
        .value_kind:     by_value
      - .offset:         120
        .size:           8
        .value_kind:     by_value
      - .offset:         128
        .size:           8
        .value_kind:     by_value
      - .offset:         136
        .size:           8
        .value_kind:     by_value
      - .offset:         144
        .size:           8
        .value_kind:     by_value
      - .offset:         152
        .size:           8
        .value_kind:     by_value
      - .offset:         160
        .size:           8
        .value_kind:     by_value
      - .offset:         168
        .size:           8
        .value_kind:     by_value
      - .offset:         176
        .size:           8
        .value_kind:     by_value
      - .offset:         184
        .size:           8
        .value_kind:     by_value
      - .offset:         192
        .size:           8
        .value_kind:     by_value
      - .offset:         200
        .size:           8
        .value_kind:     by_value
      - .offset:         208
        .size:           8
        .value_kind:     by_value
      - .offset:         216
        .size:           8
        .value_kind:     by_value
      - .offset:         224
        .size:           8
        .value_kind:     by_value
      - .offset:         232
        .size:           8
        .value_kind:     by_value
      - .offset:         240
        .size:           8
        .value_kind:     by_value
      - .offset:         248
        .size:           4
        .value_kind:     by_value
      - .offset:         252
        .size:           4
        .value_kind:     by_value
      - .offset:         256
        .size:           4
        .value_kind:     by_value
      - .offset:         260
        .size:           4
        .value_kind:     by_value
      - .offset:         264
        .size:           4
        .value_kind:     by_value
      - .offset:         268
        .size:           4
        .value_kind:     by_value
      - .offset:         272
        .size:           4
        .value_kind:     by_value
      - .offset:         276
        .size:           4
        .value_kind:     by_value
      - .offset:         280
        .size:           4
        .value_kind:     by_value
      - .offset:         288
        .size:           4
        .value_kind:     hidden_block_count_x
      - .offset:         292
        .size:           4
        .value_kind:     hidden_block_count_y
      - .offset:         296
        .size:           4
        .value_kind:     hidden_block_count_z
      - .offset:         300
        .size:           2
        .value_kind:     hidden_group_size_x
      - .offset:         302
        .size:           2
        .value_kind:     hidden_group_size_y
      - .offset:         304
        .size:           2
        .value_kind:     hidden_group_size_z
      - .offset:         306
        .size:           2
        .value_kind:     hidden_remainder_x
      - .offset:         308
        .size:           2
        .value_kind:     hidden_remainder_y
      - .offset:         310
        .size:           2
        .value_kind:     hidden_remainder_z
      - .offset:         328
        .size:           8
        .value_kind:     hidden_global_offset_x
      - .offset:         336
        .size:           8
        .value_kind:     hidden_global_offset_y
      - .offset:         344
        .size:           8
        .value_kind:     hidden_global_offset_z
      - .offset:         352
        .size:           2
        .value_kind:     hidden_grid_dims
    .group_segment_fixed_size: 0
    .kernarg_segment_align: 8
    .kernarg_segment_size: 544
    .language:       OpenCL C
    .language_version:
      - 2
      - 0
    .max_flat_workgroup_size: 1024
    .name:           _ZL16im2col_3d_kernelIfEvPKfPT_llllllllllllllllllllllllllllliiiiiiiii
    .private_segment_fixed_size: 0
    .sgpr_count:     81
    .sgpr_spill_count: 0
    .symbol:         _ZL16im2col_3d_kernelIfEvPKfPT_llllllllllllllllllllllllllllliiiiiiiii.kd
    .uniform_work_group_size: 1
    .uses_dynamic_stack: false
    .vgpr_count:     26
    .vgpr_spill_count: 0
    .wavefront_size: 64
amdhsa.target:   amdgcn-amd-amdhsa--gfx906
amdhsa.version:
  - 1
  - 2
...

	.end_amdgpu_metadata
